;; amdgpu-corpus repo=zjin-lcf/HeCBench kind=compiled arch=gfx90a opt=O3
	.text
	.amdgcn_target "amdgcn-amd-amdhsa--gfx90a"
	.amdhsa_code_object_version 6
	.protected	_Z8fill_sigPdS_S_PKdS1_i ; -- Begin function _Z8fill_sigPdS_S_PKdS1_i
	.globl	_Z8fill_sigPdS_S_PKdS1_i
	.p2align	8
	.type	_Z8fill_sigPdS_S_PKdS1_i,@function
_Z8fill_sigPdS_S_PKdS1_i:               ; @_Z8fill_sigPdS_S_PKdS1_i
; %bb.0:
	s_load_dword s0, s[4:5], 0x3c
	s_load_dword s1, s[4:5], 0x28
	s_waitcnt lgkmcnt(0)
	s_and_b32 s0, s0, 0xffff
	s_mul_i32 s6, s6, s0
	v_add_u32_e32 v0, s6, v0
	v_cmp_gt_i32_e32 vcc, s1, v0
	s_and_saveexec_b64 s[0:1], vcc
	s_cbranch_execz .LBB0_2
; %bb.1:
	s_load_dwordx8 s[8:15], s[4:5], 0x0
	s_load_dwordx2 s[0:1], s[4:5], 0x20
	v_ashrrev_i32_e32 v1, 31, v0
	v_lshlrev_b64 v[0:1], 3, v[0:1]
	s_waitcnt lgkmcnt(0)
	v_mov_b32_e32 v3, s15
	v_add_co_u32_e32 v2, vcc, s14, v0
	v_addc_co_u32_e32 v3, vcc, v3, v1, vcc
	v_mov_b32_e32 v5, s1
	v_add_co_u32_e32 v4, vcc, s0, v0
	v_addc_co_u32_e32 v5, vcc, v5, v1, vcc
	global_load_dwordx2 v[2:3], v[2:3], off
	v_mov_b32_e32 v7, s13
	global_load_dwordx2 v[4:5], v[4:5], off
	v_add_co_u32_e32 v6, vcc, s12, v0
	v_addc_co_u32_e32 v7, vcc, v7, v1, vcc
	v_mov_b32_e32 v9, s11
	v_add_co_u32_e32 v8, vcc, s10, v0
	v_addc_co_u32_e32 v9, vcc, v9, v1, vcc
	v_mov_b32_e32 v10, s9
	v_add_co_u32_e32 v0, vcc, s8, v0
	v_addc_co_u32_e32 v1, vcc, v10, v1, vcc
	s_waitcnt vmcnt(0)
	v_add_f64 v[2:3], -v[2:3], -v[4:5]
	global_store_dwordx2 v[6:7], v[2:3], off
	global_store_dwordx2 v[8:9], v[2:3], off
	global_store_dwordx2 v[0:1], v[2:3], off
.LBB0_2:
	s_endpgm
	.section	.rodata,"a",@progbits
	.p2align	6, 0x0
	.amdhsa_kernel _Z8fill_sigPdS_S_PKdS1_i
		.amdhsa_group_segment_fixed_size 0
		.amdhsa_private_segment_fixed_size 0
		.amdhsa_kernarg_size 304
		.amdhsa_user_sgpr_count 6
		.amdhsa_user_sgpr_private_segment_buffer 1
		.amdhsa_user_sgpr_dispatch_ptr 0
		.amdhsa_user_sgpr_queue_ptr 0
		.amdhsa_user_sgpr_kernarg_segment_ptr 1
		.amdhsa_user_sgpr_dispatch_id 0
		.amdhsa_user_sgpr_flat_scratch_init 0
		.amdhsa_user_sgpr_kernarg_preload_length 0
		.amdhsa_user_sgpr_kernarg_preload_offset 0
		.amdhsa_user_sgpr_private_segment_size 0
		.amdhsa_uses_dynamic_stack 0
		.amdhsa_system_sgpr_private_segment_wavefront_offset 0
		.amdhsa_system_sgpr_workgroup_id_x 1
		.amdhsa_system_sgpr_workgroup_id_y 0
		.amdhsa_system_sgpr_workgroup_id_z 0
		.amdhsa_system_sgpr_workgroup_info 0
		.amdhsa_system_vgpr_workitem_id 0
		.amdhsa_next_free_vgpr 11
		.amdhsa_next_free_sgpr 16
		.amdhsa_accum_offset 12
		.amdhsa_reserve_vcc 1
		.amdhsa_reserve_flat_scratch 0
		.amdhsa_float_round_mode_32 0
		.amdhsa_float_round_mode_16_64 0
		.amdhsa_float_denorm_mode_32 3
		.amdhsa_float_denorm_mode_16_64 3
		.amdhsa_dx10_clamp 1
		.amdhsa_ieee_mode 1
		.amdhsa_fp16_overflow 0
		.amdhsa_tg_split 0
		.amdhsa_exception_fp_ieee_invalid_op 0
		.amdhsa_exception_fp_denorm_src 0
		.amdhsa_exception_fp_ieee_div_zero 0
		.amdhsa_exception_fp_ieee_overflow 0
		.amdhsa_exception_fp_ieee_underflow 0
		.amdhsa_exception_fp_ieee_inexact 0
		.amdhsa_exception_int_div_zero 0
	.end_amdhsa_kernel
	.text
.Lfunc_end0:
	.size	_Z8fill_sigPdS_S_PKdS1_i, .Lfunc_end0-_Z8fill_sigPdS_S_PKdS1_i
                                        ; -- End function
	.section	.AMDGPU.csdata,"",@progbits
; Kernel info:
; codeLenInByte = 196
; NumSgprs: 20
; NumVgprs: 11
; NumAgprs: 0
; TotalNumVgprs: 11
; ScratchSize: 0
; MemoryBound: 0
; FloatMode: 240
; IeeeMode: 1
; LDSByteSize: 0 bytes/workgroup (compile time only)
; SGPRBlocks: 2
; VGPRBlocks: 1
; NumSGPRsForWavesPerEU: 20
; NumVGPRsForWavesPerEU: 11
; AccumOffset: 12
; Occupancy: 8
; WaveLimiterHint : 0
; COMPUTE_PGM_RSRC2:SCRATCH_EN: 0
; COMPUTE_PGM_RSRC2:USER_SGPR: 6
; COMPUTE_PGM_RSRC2:TRAP_HANDLER: 0
; COMPUTE_PGM_RSRC2:TGID_X_EN: 1
; COMPUTE_PGM_RSRC2:TGID_Y_EN: 0
; COMPUTE_PGM_RSRC2:TGID_Z_EN: 0
; COMPUTE_PGM_RSRC2:TIDIG_COMP_CNT: 0
; COMPUTE_PGM_RSRC3_GFX90A:ACCUM_OFFSET: 2
; COMPUTE_PGM_RSRC3_GFX90A:TG_SPLIT: 0
	.text
	.protected	_Z15integrateStressPdS_S_PKdS1_S1_PKiS1_S1_S1_S_i ; -- Begin function _Z15integrateStressPdS_S_PKdS1_S1_PKiS1_S1_S1_S_i
	.globl	_Z15integrateStressPdS_S_PKdS1_S1_PKiS1_S1_S1_S_i
	.p2align	8
	.type	_Z15integrateStressPdS_S_PKdS1_S1_PKiS1_S1_S1_S_i,@function
_Z15integrateStressPdS_S_PKdS1_S1_PKiS1_S1_S1_S_i: ; @_Z15integrateStressPdS_S_PKdS1_S1_PKiS1_S1_S1_S_i
; %bb.0:
	s_load_dword s0, s[4:5], 0x6c
	s_load_dword s1, s[4:5], 0x58
	s_waitcnt lgkmcnt(0)
	s_and_b32 s0, s0, 0xffff
	s_mul_i32 s6, s6, s0
	v_add_u32_e32 v12, s6, v0
	v_cmp_gt_i32_e32 vcc, s1, v12
	s_and_saveexec_b64 s[0:1], vcc
	s_cbranch_execz .LBB1_2
; %bb.1:
	s_load_dwordx8 s[16:23], s[4:5], 0x20
	v_lshlrev_b32_e32 v0, 3, v12
	v_ashrrev_i32_e32 v1, 31, v0
	v_lshlrev_b64 v[2:3], 2, v[0:1]
	s_load_dwordx8 s[8:15], s[4:5], 0x0
	s_waitcnt lgkmcnt(0)
	v_mov_b32_e32 v4, s21
	v_add_co_u32_e32 v10, vcc, s20, v2
	v_addc_co_u32_e32 v11, vcc, v4, v3, vcc
	global_load_dwordx4 v[2:5], v[10:11], off
	global_load_dwordx4 v[6:9], v[10:11], off offset:16
	v_mov_b32_e32 v13, s15
	v_mov_b32_e32 v59, s17
	s_load_dwordx2 s[6:7], s[4:5], 0x50
	s_load_dwordx4 s[0:3], s[4:5], 0x40
	s_mov_b32 s4, 0
	s_mov_b32 s5, 0x3fd00000
	v_lshlrev_b64 v[0:1], 3, v[0:1]
	s_waitcnt vmcnt(1)
	v_ashrrev_i32_e32 v11, 31, v2
	v_mov_b32_e32 v10, v2
	v_lshlrev_b64 v[50:51], 3, v[10:11]
	v_ashrrev_i32_e32 v15, 31, v3
	v_mov_b32_e32 v14, v3
	v_ashrrev_i32_e32 v3, 31, v4
	v_mov_b32_e32 v2, v4
	;; [unrolled: 2-line block ×3, first 2 shown]
	s_waitcnt vmcnt(0)
	v_ashrrev_i32_e32 v5, 31, v6
	v_mov_b32_e32 v4, v6
	v_ashrrev_i32_e32 v19, 31, v7
	v_mov_b32_e32 v18, v7
	;; [unrolled: 2-line block ×3, first 2 shown]
	v_add_co_u32_e32 v8, vcc, s14, v50
	v_ashrrev_i32_e32 v21, 31, v9
	v_mov_b32_e32 v20, v9
	v_lshlrev_b64 v[46:47], 3, v[14:15]
	v_addc_co_u32_e32 v9, vcc, v13, v51, vcc
	v_add_co_u32_e32 v10, vcc, s14, v46
	v_lshlrev_b64 v[40:41], 3, v[2:3]
	v_addc_co_u32_e32 v11, vcc, v13, v47, vcc
	v_add_co_u32_e32 v14, vcc, s14, v40
	v_lshlrev_b64 v[38:39], 3, v[16:17]
	v_addc_co_u32_e32 v15, vcc, v13, v41, vcc
	v_lshlrev_b64 v[24:25], 3, v[20:21]
	v_add_co_u32_e32 v20, vcc, s14, v38
	v_lshlrev_b64 v[26:27], 3, v[4:5]
	v_addc_co_u32_e32 v21, vcc, v13, v39, vcc
	v_add_co_u32_e32 v22, vcc, s14, v26
	v_lshlrev_b64 v[48:49], 3, v[18:19]
	v_addc_co_u32_e32 v23, vcc, v13, v27, vcc
	;; [unrolled: 3-line block ×3, first 2 shown]
	v_add_co_u32_e32 v42, vcc, s14, v34
	v_addc_co_u32_e32 v43, vcc, v13, v35, vcc
	v_add_co_u32_e32 v44, vcc, s14, v24
	v_addc_co_u32_e32 v45, vcc, v13, v25, vcc
	;; [unrolled: 2-line block ×5, first 2 shown]
	global_load_dwordx2 v[16:17], v[8:9], off
	global_load_dwordx2 v[36:37], v[10:11], off
	;; [unrolled: 1-line block ×8, first 2 shown]
	v_add_co_u32_e32 v8, vcc, s16, v38
	v_addc_co_u32_e32 v9, vcc, v59, v39, vcc
	global_load_dwordx2 v[20:21], v[52:53], off
	global_load_dwordx2 v[42:43], v[54:55], off
	;; [unrolled: 1-line block ×4, first 2 shown]
	v_add_co_u32_e32 v52, vcc, s16, v26
	v_addc_co_u32_e32 v53, vcc, v59, v27, vcc
	v_add_co_u32_e32 v54, vcc, s16, v48
	v_addc_co_u32_e32 v55, vcc, v59, v49, vcc
	v_add_co_u32_e32 v56, vcc, s16, v34
	v_addc_co_u32_e32 v57, vcc, v59, v35, vcc
	v_add_co_u32_e32 v58, vcc, s16, v24
	v_addc_co_u32_e32 v59, vcc, v59, v25, vcc
	global_load_dwordx2 v[8:9], v[52:53], off
	global_load_dwordx2 v[10:11], v[54:55], off
	;; [unrolled: 1-line block ×4, first 2 shown]
	v_mov_b32_e32 v13, s19
	v_add_co_u32_e32 v52, vcc, s18, v50
	v_addc_co_u32_e32 v53, vcc, v13, v51, vcc
	v_add_co_u32_e32 v54, vcc, s18, v46
	v_addc_co_u32_e32 v55, vcc, v13, v47, vcc
	;; [unrolled: 2-line block ×4, first 2 shown]
	global_load_dwordx2 v[38:39], v[52:53], off
	global_load_dwordx2 v[50:51], v[54:55], off
	;; [unrolled: 1-line block ×4, first 2 shown]
	v_add_co_u32_e32 v52, vcc, s18, v48
	v_addc_co_u32_e32 v53, vcc, v13, v49, vcc
	v_add_co_u32_e32 v54, vcc, s18, v34
	v_addc_co_u32_e32 v55, vcc, v13, v35, vcc
	;; [unrolled: 2-line block ×3, first 2 shown]
	v_add_co_u32_e32 v26, vcc, s18, v26
	global_load_dwordx2 v[24:25], v[52:53], off
	global_load_dwordx2 v[48:49], v[54:55], off
	;; [unrolled: 1-line block ×3, first 2 shown]
	v_addc_co_u32_e32 v27, vcc, v13, v27, vcc
	global_load_dwordx2 v[26:27], v[26:27], off
	v_ashrrev_i32_e32 v13, 31, v12
	v_lshlrev_b64 v[12:13], 3, v[12:13]
	s_waitcnt vmcnt(19)
	v_add_f64 v[60:61], v[2:3], -v[28:29]
	s_waitcnt vmcnt(18)
	v_add_f64 v[56:57], v[4:5], -v[18:19]
	;; [unrolled: 2-line block ×4, first 2 shown]
	v_add_f64 v[52:53], v[56:57], v[54:55]
	v_add_f64 v[54:55], v[54:55], -v[56:57]
	v_add_f64 v[72:73], v[52:53], -v[58:59]
	v_add_f64 v[52:53], v[52:53], v[58:59]
	v_add_f64 v[54:55], v[54:55], v[58:59]
	;; [unrolled: 1-line block ×3, first 2 shown]
	v_add_f64 v[56:57], v[54:55], -v[60:61]
	v_add_f64 v[72:73], v[72:73], -v[60:61]
	v_ldexp_f64 v[52:53], v[52:53], -3
	v_ldexp_f64 v[72:73], v[72:73], -3
	;; [unrolled: 1-line block ×3, first 2 shown]
	s_waitcnt lgkmcnt(0)
	v_mov_b32_e32 v59, s7
	v_add_co_u32_e32 v58, vcc, s6, v12
	v_addc_co_u32_e32 v59, vcc, v59, v13, vcc
	s_waitcnt vmcnt(11)
	v_add_f64 v[68:69], v[8:9], -v[32:33]
	s_waitcnt vmcnt(10)
	v_add_f64 v[64:65], v[10:11], -v[22:23]
	;; [unrolled: 2-line block ×4, first 2 shown]
	v_add_f64 v[70:71], v[64:65], v[62:63]
	v_add_f64 v[74:75], v[70:71], -v[66:67]
	v_add_f64 v[74:75], v[74:75], -v[68:69]
	v_add_f64 v[70:71], v[70:71], v[66:67]
	v_ldexp_f64 v[74:75], v[74:75], -3
	v_add_f64 v[70:71], v[68:69], v[70:71]
	v_add_f64 v[54:55], v[62:63], -v[64:65]
	v_ldexp_f64 v[70:71], v[70:71], -3
	v_add_f64 v[54:55], v[54:55], v[66:67]
	v_add_f64 v[54:55], v[54:55], -v[68:69]
	v_ldexp_f64 v[54:55], v[54:55], -3
	s_waitcnt vmcnt(3)
	v_add_f64 v[78:79], v[24:25], -v[40:41]
	s_waitcnt vmcnt(2)
	v_add_f64 v[76:77], v[48:49], -v[38:39]
	v_add_f64 v[80:81], v[78:79], v[76:77]
	s_waitcnt vmcnt(1)
	v_add_f64 v[82:83], v[34:35], -v[50:51]
	v_add_f64 v[84:85], v[80:81], -v[82:83]
	s_waitcnt vmcnt(0)
	v_add_f64 v[86:87], v[26:27], -v[46:47]
	v_add_f64 v[80:81], v[80:81], v[82:83]
	v_add_f64 v[80:81], v[86:87], v[80:81]
	v_add_f64 v[84:85], v[84:85], -v[86:87]
	v_ldexp_f64 v[80:81], v[80:81], -3
	v_ldexp_f64 v[84:85], v[84:85], -3
	v_mul_f64 v[88:89], v[74:75], v[80:81]
	v_fma_f64 v[88:89], v[70:71], v[84:85], -v[88:89]
	v_mul_f64 v[84:85], v[52:53], v[84:85]
	v_fma_f64 v[80:81], v[72:73], v[80:81], -v[84:85]
	v_mul_f64 v[54:55], v[54:55], v[80:81]
	v_fmac_f64_e32 v[54:55], v[56:57], v[88:89]
	v_add_f64 v[56:57], v[76:77], -v[78:79]
	v_add_f64 v[56:57], v[56:57], v[82:83]
	v_mul_f64 v[70:71], v[72:73], v[70:71]
	v_add_f64 v[56:57], v[56:57], -v[86:87]
	v_fma_f64 v[52:53], v[52:53], v[74:75], -v[70:71]
	v_ldexp_f64 v[56:57], v[56:57], -3
	v_fmac_f64_e32 v[54:55], v[52:53], v[56:57]
	v_add_f64 v[56:57], v[46:47], v[40:41]
	v_add_f64 v[56:57], v[56:57], -v[50:51]
	v_ldexp_f64 v[52:53], v[54:55], 3
	v_add_f64 v[56:57], v[56:57], -v[38:39]
	global_store_dwordx2 v[58:59], v[52:53], off
	v_mul_f64 v[58:59], v[56:57], 0.5
	v_add_f64 v[56:57], v[36:37], v[28:29]
	v_add_f64 v[56:57], v[56:57], -v[18:19]
	v_add_f64 v[56:57], v[56:57], -v[16:17]
	v_mul_f64 v[60:61], v[56:57], 0.5
	v_add_f64 v[56:57], v[42:43], v[32:33]
	v_add_f64 v[56:57], v[56:57], -v[22:23]
	v_add_f64 v[56:57], v[56:57], -v[20:21]
	v_add_f64 v[54:55], v[32:33], v[22:23]
	v_mul_f64 v[62:63], v[56:57], 0.5
	v_add_f64 v[56:57], v[50:51], v[46:47]
	v_add_f64 v[52:53], v[28:29], v[18:19]
	v_add_f64 v[54:55], v[54:55], -v[42:43]
	v_add_f64 v[56:57], v[56:57], -v[40:41]
	;; [unrolled: 1-line block ×6, first 2 shown]
	v_mul_f64 v[54:55], v[54:55], 0.5
	v_mul_f64 v[64:65], v[56:57], 0.5
	v_mul_f64 v[56:57], v[62:63], v[58:59]
	v_mul_f64 v[52:53], v[52:53], 0.5
	v_fma_f64 v[56:57], v[54:55], v[64:65], -v[56:57]
	v_mul_f64 v[54:55], v[60:61], v[54:55]
	v_mul_f64 v[64:65], v[52:53], v[64:65]
	v_fma_f64 v[52:53], v[52:53], v[62:63], -v[54:55]
	v_add_f64 v[62:63], v[2:3], v[4:5]
	v_add_f64 v[62:63], v[62:63], -v[36:37]
	v_fma_f64 v[58:59], v[60:61], v[58:59], -v[64:65]
	v_add_f64 v[60:61], v[42:43], v[10:11]
	v_add_f64 v[62:63], v[62:63], -v[16:17]
	v_add_f64 v[60:61], v[60:61], -v[8:9]
	v_mul_f64 v[66:67], v[62:63], 0.5
	v_add_f64 v[62:63], v[8:9], v[10:11]
	v_add_f64 v[60:61], v[60:61], -v[20:21]
	v_add_f64 v[62:63], v[62:63], -v[42:43]
	v_mul_f64 v[64:65], v[60:61], 0.5
	v_add_f64 v[60:61], v[50:51], v[24:25]
	v_add_f64 v[62:63], v[62:63], -v[20:21]
	v_add_f64 v[54:55], v[36:37], v[4:5]
	v_add_f64 v[60:61], v[60:61], -v[26:27]
	v_mul_f64 v[68:69], v[62:63], 0.5
	v_add_f64 v[62:63], v[26:27], v[24:25]
	v_add_f64 v[54:55], v[54:55], -v[2:3]
	v_add_f64 v[60:61], v[60:61], -v[38:39]
	;; [unrolled: 1-line block ×4, first 2 shown]
	v_mul_f64 v[60:61], v[60:61], 0.5
	v_add_f64 v[62:63], v[62:63], -v[38:39]
	v_mul_f64 v[54:55], v[54:55], 0.5
	v_mul_f64 v[70:71], v[62:63], 0.5
	v_mul_f64 v[62:63], v[68:69], v[60:61]
	v_fma_f64 v[62:63], v[64:65], v[70:71], -v[62:63]
	v_mul_f64 v[70:71], v[54:55], v[70:71]
	v_mul_f64 v[64:65], v[66:67], v[64:65]
	v_fma_f64 v[60:61], v[66:67], v[60:61], -v[70:71]
	v_fma_f64 v[54:55], v[54:55], v[68:69], -v[64:65]
	v_add_f64 v[64:65], v[28:29], v[30:31]
	v_add_f64 v[66:67], v[4:5], v[30:31]
	v_add_f64 v[64:65], v[64:65], -v[4:5]
	v_add_f64 v[68:69], v[66:67], -v[28:29]
	;; [unrolled: 1-line block ×4, first 2 shown]
	v_add_f64 v[68:69], v[32:33], v[44:45]
	v_add_f64 v[70:71], v[10:11], v[44:45]
	v_add_f64 v[68:69], v[68:69], -v[10:11]
	v_add_f64 v[72:73], v[70:71], -v[32:33]
	v_add_f64 v[68:69], v[68:69], -v[42:43]
	v_add_f64 v[42:43], v[72:73], -v[42:43]
	v_add_f64 v[72:73], v[46:47], v[48:49]
	v_add_f64 v[72:73], v[72:73], -v[24:25]
	v_add_f64 v[74:75], v[24:25], v[48:49]
	v_add_f64 v[72:73], v[72:73], -v[50:51]
	v_add_f64 v[76:77], v[74:75], -v[46:47]
	;; [unrolled: 1-line block ×3, first 2 shown]
	v_mul_f64 v[72:73], v[72:73], 0.5
	v_mul_f64 v[76:77], v[42:43], 0.5
	;; [unrolled: 1-line block ×5, first 2 shown]
	v_mul_f64 v[50:51], v[76:77], v[72:73]
	v_mul_f64 v[36:37], v[36:37], 0.5
	v_fma_f64 v[50:51], v[68:69], v[42:43], -v[50:51]
	v_mul_f64 v[42:43], v[64:65], v[42:43]
	v_fma_f64 v[42:43], v[36:37], v[72:73], -v[42:43]
	v_mul_f64 v[36:37], v[36:37], v[68:69]
	v_fma_f64 v[36:37], v[64:65], v[76:77], -v[36:37]
	v_add_f64 v[64:65], v[18:19], v[6:7]
	v_add_f64 v[68:69], v[30:31], v[6:7]
	v_add_f64 v[64:65], v[64:65], -v[30:31]
	v_add_f64 v[30:31], v[68:69], -v[18:19]
	;; [unrolled: 1-line block ×4, first 2 shown]
	v_add_f64 v[30:31], v[22:23], v[14:15]
	v_add_f64 v[30:31], v[30:31], -v[44:45]
	v_add_f64 v[44:45], v[44:45], v[14:15]
	v_add_f64 v[72:73], v[44:45], -v[22:23]
	v_add_f64 v[30:31], v[30:31], -v[32:33]
	v_add_f64 v[32:33], v[72:73], -v[32:33]
	v_add_f64 v[72:73], v[40:41], v[34:35]
	v_add_f64 v[72:73], v[72:73], -v[48:49]
	v_add_f64 v[76:77], v[48:49], v[34:35]
	v_add_f64 v[72:73], v[72:73], -v[46:47]
	v_add_f64 v[48:49], v[76:77], -v[40:41]
	;; [unrolled: 1-line block ×3, first 2 shown]
	v_mul_f64 v[48:49], v[64:65], 0.5
	v_mul_f64 v[64:65], v[30:31], 0.5
	v_mul_f64 v[30:31], v[72:73], 0.5
	v_mul_f64 v[72:73], v[32:33], 0.5
	v_mul_f64 v[46:47], v[46:47], 0.5
	v_mul_f64 v[32:33], v[72:73], v[30:31]
	v_mul_f64 v[28:29], v[28:29], 0.5
	v_fma_f64 v[32:33], v[64:65], v[46:47], -v[32:33]
	v_mul_f64 v[46:47], v[48:49], v[46:47]
	v_fma_f64 v[30:31], v[28:29], v[30:31], -v[46:47]
	v_add_f64 v[46:47], v[2:3], v[6:7]
	v_add_f64 v[46:47], v[46:47], -v[16:17]
	v_add_f64 v[16:17], v[16:17], v[2:3]
	v_add_f64 v[16:17], v[16:17], -v[6:7]
	v_add_f64 v[16:17], v[16:17], -v[18:19]
	v_add_f64 v[18:19], v[46:47], -v[18:19]
	v_add_f64 v[46:47], v[8:9], v[14:15]
	v_add_f64 v[46:47], v[46:47], -v[20:21]
	v_add_f64 v[20:21], v[20:21], v[8:9]
	v_add_f64 v[20:21], v[20:21], -v[14:15]
	v_add_f64 v[20:21], v[20:21], -v[22:23]
	v_add_f64 v[22:23], v[46:47], -v[22:23]
	;; [unrolled: 6-line block ×3, first 2 shown]
	v_mul_f64 v[46:47], v[20:21], 0.5
	v_mul_f64 v[20:21], v[38:39], 0.5
	;; [unrolled: 1-line block ×5, first 2 shown]
	v_mul_f64 v[38:39], v[22:23], v[20:21]
	v_mul_f64 v[18:19], v[18:19], 0.5
	v_fma_f64 v[38:39], v[46:47], v[40:41], -v[38:39]
	v_mul_f64 v[40:41], v[16:17], v[40:41]
	v_mul_f64 v[28:29], v[28:29], v[64:65]
	v_fma_f64 v[20:21], v[18:19], v[20:21], -v[40:41]
	v_mul_f64 v[18:19], v[18:19], v[46:47]
	v_fma_f64 v[28:29], v[48:49], v[72:73], -v[28:29]
	v_fma_f64 v[18:19], v[16:17], v[22:23], -v[18:19]
	v_add_f64 v[40:41], v[66:67], -v[6:7]
	v_add_f64 v[46:47], v[70:71], -v[14:15]
	v_fma_f64 v[16:17], v[56:57], s[4:5], 0
	v_add_f64 v[48:49], v[74:75], -v[34:35]
	v_add_f64 v[56:57], v[68:69], -v[4:5]
	;; [unrolled: 1-line block ×3, first 2 shown]
	v_fma_f64 v[14:15], v[58:59], s[4:5], 0
	v_add_f64 v[58:59], v[40:41], -v[2:3]
	v_add_f64 v[56:57], v[56:57], -v[2:3]
	;; [unrolled: 1-line block ×5, first 2 shown]
	v_mul_f64 v[44:45], v[58:59], 0.5
	v_mul_f64 v[58:59], v[48:49], 0.5
	v_mul_f64 v[48:49], v[56:57], 0.5
	v_mul_f64 v[56:57], v[8:9], 0.5
	v_add_f64 v[8:9], v[76:77], -v[24:25]
	v_add_f64 v[8:9], v[8:9], -v[26:27]
	v_mul_f64 v[46:47], v[46:47], 0.5
	v_mul_f64 v[8:9], v[8:9], 0.5
	v_mul_f64 v[10:11], v[56:57], v[58:59]
	v_mov_b32_e32 v25, s23
	v_add_co_u32_e32 v24, vcc, s22, v12
	v_fma_f64 v[10:11], v[46:47], v[8:9], -v[10:11]
	v_mul_f64 v[8:9], v[44:45], v[8:9]
	v_addc_co_u32_e32 v25, vcc, v25, v13, vcc
	v_fma_f64 v[8:9], v[48:49], v[58:59], -v[8:9]
	v_mov_b32_e32 v26, s1
	v_add_co_u32_e32 v58, vcc, s0, v12
	v_pk_mov_b32 v[22:23], v[14:15], v[14:15] op_sel:[0,1]
	v_addc_co_u32_e32 v59, vcc, v26, v13, vcc
	global_load_dwordx2 v[24:25], v[24:25], off
	v_fmac_f64_e32 v[22:23], 0x3fd00000, v[60:61]
	v_fma_f64 v[4:5], v[60:61], s[4:5], 0
	v_mov_b32_e32 v26, s3
	v_add_co_u32_e32 v60, vcc, s2, v12
	v_addc_co_u32_e32 v61, vcc, v26, v13, vcc
	global_load_dwordx2 v[26:27], v[58:59], off
	global_load_dwordx2 v[12:13], v[60:61], off
	v_mul_f64 v[46:47], v[48:49], v[46:47]
	v_fma_f64 v[56:57], v[44:45], v[56:57], -v[46:47]
	v_mov_b32_e32 v44, s9
	v_add_co_u32_e32 v46, vcc, s8, v0
	v_addc_co_u32_e32 v47, vcc, v44, v1, vcc
	v_mov_b32_e32 v45, s11
	v_add_co_u32_e32 v44, vcc, s10, v0
	v_addc_co_u32_e32 v45, vcc, v45, v1, vcc
	v_mov_b32_e32 v48, s13
	v_add_co_u32_e32 v0, vcc, s12, v0
	v_pk_mov_b32 v[58:59], v[16:17], v[16:17] op_sel:[0,1]
	v_pk_mov_b32 v[34:35], v[16:17], v[16:17] op_sel:[0,1]
	v_addc_co_u32_e32 v1, vcc, v48, v1, vcc
	v_fma_f64 v[48:49], v[50:51], s[4:5], 0
	v_fmac_f64_e32 v[58:59], 0x3fd00000, v[50:51]
	v_fmac_f64_e32 v[34:35], 0x3fd00000, v[62:63]
	v_fma_f64 v[6:7], v[62:63], s[4:5], 0
	v_fmac_f64_e32 v[58:59], 0x3fd00000, v[32:33]
	v_fmac_f64_e32 v[48:49], 0x3fd00000, v[32:33]
	v_fmac_f64_e32 v[16:17], 0x3fd00000, v[32:33]
	v_fma_f64 v[32:33], v[32:33], s[4:5], 0
	v_pk_mov_b32 v[62:63], v[14:15], v[14:15] op_sel:[0,1]
	v_pk_mov_b32 v[40:41], v[34:35], v[34:35] op_sel:[0,1]
	;; [unrolled: 1-line block ×3, first 2 shown]
	v_fmac_f64_e32 v[16:17], 0x3fd00000, v[38:39]
	v_fmac_f64_e32 v[32:33], 0x3fd00000, v[38:39]
	;; [unrolled: 1-line block ×5, first 2 shown]
	v_fma_f64 v[38:39], v[42:43], s[4:5], 0
	v_fmac_f64_e32 v[40:41], 0x3fd00000, v[50:51]
	v_fmac_f64_e32 v[2:3], 0x3fd00000, v[50:51]
	v_pk_mov_b32 v[50:51], v[22:23], v[22:23] op_sel:[0,1]
	v_pk_mov_b32 v[60:61], v[4:5], v[4:5] op_sel:[0,1]
	v_fmac_f64_e32 v[62:63], 0x3fd00000, v[30:31]
	v_fmac_f64_e32 v[38:39], 0x3fd00000, v[30:31]
	;; [unrolled: 1-line block ×3, first 2 shown]
	v_fma_f64 v[30:31], v[30:31], s[4:5], 0
	v_fmac_f64_e32 v[50:51], 0x3fd00000, v[42:43]
	v_fmac_f64_e32 v[60:61], 0x3fd00000, v[42:43]
	;; [unrolled: 1-line block ×4, first 2 shown]
	v_fma_f64 v[42:43], v[52:53], s[4:5], 0
	v_fmac_f64_e32 v[22:23], 0x3fd00000, v[20:21]
	v_pk_mov_b32 v[52:53], v[42:43], v[42:43] op_sel:[0,1]
	v_fmac_f64_e32 v[6:7], 0x3fd00000, v[10:11]
	v_fmac_f64_e32 v[32:33], 0x3fd00000, v[10:11]
	;; [unrolled: 1-line block ×9, first 2 shown]
	v_fma_f64 v[54:55], v[54:55], s[4:5], 0
	v_fmac_f64_e32 v[14:15], 0x3fd00000, v[20:21]
	v_pk_mov_b32 v[64:65], v[52:53], v[52:53] op_sel:[0,1]
	v_pk_mov_b32 v[66:67], v[54:55], v[54:55] op_sel:[0,1]
	;; [unrolled: 1-line block ×3, first 2 shown]
	v_fma_f64 v[70:71], v[36:37], s[4:5], 0
	v_fma_f64 v[20:21], v[28:29], s[4:5], 0
	v_fmac_f64_e32 v[64:65], 0x3fd00000, v[36:37]
	v_fmac_f64_e32 v[66:67], 0x3fd00000, v[36:37]
	;; [unrolled: 1-line block ×4, first 2 shown]
	s_waitcnt vmcnt(2)
	v_mul_f64 v[8:9], v[24:25], -v[34:35]
	v_mul_f64 v[10:11], v[24:25], -v[40:41]
	global_store_dwordx4 v[46:47], v[8:11], off
	v_fmac_f64_e32 v[42:43], 0x3fd00000, v[28:29]
	v_fmac_f64_e32 v[20:21], 0x3fd00000, v[18:19]
	;; [unrolled: 1-line block ×4, first 2 shown]
	s_waitcnt vmcnt(2)
	v_mul_f64 v[8:9], v[26:27], -v[22:23]
	v_mul_f64 v[10:11], v[26:27], -v[50:51]
	global_store_dwordx4 v[44:45], v[8:11], off
	v_mul_f64 v[6:7], v[24:25], -v[6:7]
	v_mul_f64 v[8:9], v[24:25], -v[58:59]
	;; [unrolled: 1-line block ×3, first 2 shown]
	global_store_dwordx4 v[46:47], v[8:11], off offset:16
	v_fmac_f64_e32 v[68:69], 0x3fd00000, v[28:29]
	v_mul_f64 v[8:9], v[24:25], -v[2:3]
	v_fmac_f64_e32 v[42:43], 0x3fd00000, v[18:19]
	v_fmac_f64_e32 v[54:55], 0x3fd00000, v[56:57]
	;; [unrolled: 1-line block ×5, first 2 shown]
	s_waitcnt vmcnt(3)
	v_mul_f64 v[34:35], v[12:13], -v[52:53]
	v_mul_f64 v[36:37], v[12:13], -v[64:65]
	;; [unrolled: 1-line block ×3, first 2 shown]
	global_store_dwordx4 v[46:47], v[6:9], off offset:32
	global_store_dwordx4 v[0:1], v[34:37], off
	v_mul_f64 v[6:7], v[26:27], -v[60:61]
	v_mul_f64 v[34:35], v[26:27], -v[62:63]
	;; [unrolled: 1-line block ×6, first 2 shown]
	global_store_dwordx4 v[44:45], v[4:7], off offset:32
	v_mul_f64 v[16:17], v[12:13], -v[66:67]
	v_mul_f64 v[2:3], v[24:25], -v[48:49]
	;; [unrolled: 1-line block ×7, first 2 shown]
	global_store_dwordx4 v[44:45], v[34:37], off offset:16
	global_store_dwordx4 v[0:1], v[40:43], off offset:16
	;; [unrolled: 1-line block ×6, first 2 shown]
.LBB1_2:
	s_endpgm
	.section	.rodata,"a",@progbits
	.p2align	6, 0x0
	.amdhsa_kernel _Z15integrateStressPdS_S_PKdS1_S1_PKiS1_S1_S1_S_i
		.amdhsa_group_segment_fixed_size 0
		.amdhsa_private_segment_fixed_size 0
		.amdhsa_kernarg_size 352
		.amdhsa_user_sgpr_count 6
		.amdhsa_user_sgpr_private_segment_buffer 1
		.amdhsa_user_sgpr_dispatch_ptr 0
		.amdhsa_user_sgpr_queue_ptr 0
		.amdhsa_user_sgpr_kernarg_segment_ptr 1
		.amdhsa_user_sgpr_dispatch_id 0
		.amdhsa_user_sgpr_flat_scratch_init 0
		.amdhsa_user_sgpr_kernarg_preload_length 0
		.amdhsa_user_sgpr_kernarg_preload_offset 0
		.amdhsa_user_sgpr_private_segment_size 0
		.amdhsa_uses_dynamic_stack 0
		.amdhsa_system_sgpr_private_segment_wavefront_offset 0
		.amdhsa_system_sgpr_workgroup_id_x 1
		.amdhsa_system_sgpr_workgroup_id_y 0
		.amdhsa_system_sgpr_workgroup_id_z 0
		.amdhsa_system_sgpr_workgroup_info 0
		.amdhsa_system_vgpr_workitem_id 0
		.amdhsa_next_free_vgpr 90
		.amdhsa_next_free_sgpr 24
		.amdhsa_accum_offset 92
		.amdhsa_reserve_vcc 1
		.amdhsa_reserve_flat_scratch 0
		.amdhsa_float_round_mode_32 0
		.amdhsa_float_round_mode_16_64 0
		.amdhsa_float_denorm_mode_32 3
		.amdhsa_float_denorm_mode_16_64 3
		.amdhsa_dx10_clamp 1
		.amdhsa_ieee_mode 1
		.amdhsa_fp16_overflow 0
		.amdhsa_tg_split 0
		.amdhsa_exception_fp_ieee_invalid_op 0
		.amdhsa_exception_fp_denorm_src 0
		.amdhsa_exception_fp_ieee_div_zero 0
		.amdhsa_exception_fp_ieee_overflow 0
		.amdhsa_exception_fp_ieee_underflow 0
		.amdhsa_exception_fp_ieee_inexact 0
		.amdhsa_exception_int_div_zero 0
	.end_amdhsa_kernel
	.text
.Lfunc_end1:
	.size	_Z15integrateStressPdS_S_PKdS1_S1_PKiS1_S1_S1_S_i, .Lfunc_end1-_Z15integrateStressPdS_S_PKdS1_S1_PKiS1_S1_S1_S_i
                                        ; -- End function
	.section	.AMDGPU.csdata,"",@progbits
; Kernel info:
; codeLenInByte = 3540
; NumSgprs: 28
; NumVgprs: 90
; NumAgprs: 0
; TotalNumVgprs: 90
; ScratchSize: 0
; MemoryBound: 0
; FloatMode: 240
; IeeeMode: 1
; LDSByteSize: 0 bytes/workgroup (compile time only)
; SGPRBlocks: 3
; VGPRBlocks: 11
; NumSGPRsForWavesPerEU: 28
; NumVGPRsForWavesPerEU: 90
; AccumOffset: 92
; Occupancy: 5
; WaveLimiterHint : 0
; COMPUTE_PGM_RSRC2:SCRATCH_EN: 0
; COMPUTE_PGM_RSRC2:USER_SGPR: 6
; COMPUTE_PGM_RSRC2:TRAP_HANDLER: 0
; COMPUTE_PGM_RSRC2:TGID_X_EN: 1
; COMPUTE_PGM_RSRC2:TGID_Y_EN: 0
; COMPUTE_PGM_RSRC2:TGID_Z_EN: 0
; COMPUTE_PGM_RSRC2:TIDIG_COMP_CNT: 0
; COMPUTE_PGM_RSRC3_GFX90A:ACCUM_OFFSET: 22
; COMPUTE_PGM_RSRC3_GFX90A:TG_SPLIT: 0
	.text
	.protected	_Z15acc_final_forcePKdS0_S0_PdS1_S1_PKiS3_i ; -- Begin function _Z15acc_final_forcePKdS0_S0_PdS1_S1_PKiS3_i
	.globl	_Z15acc_final_forcePKdS0_S0_PdS1_S1_PKiS3_i
	.p2align	8
	.type	_Z15acc_final_forcePKdS0_S0_PdS1_S1_PKiS3_i,@function
_Z15acc_final_forcePKdS0_S0_PdS1_S1_PKiS3_i: ; @_Z15acc_final_forcePKdS0_S0_PdS1_S1_PKiS3_i
; %bb.0:
	s_load_dword s0, s[4:5], 0x54
	s_load_dword s1, s[4:5], 0x40
	s_waitcnt lgkmcnt(0)
	s_and_b32 s0, s0, 0xffff
	s_mul_i32 s6, s6, s0
	v_add_u32_e32 v0, s6, v0
	v_cmp_gt_i32_e32 vcc, s1, v0
	s_and_saveexec_b64 s[0:1], vcc
	s_cbranch_execz .LBB2_6
; %bb.1:
	s_load_dwordx8 s[8:15], s[4:5], 0x18
	v_ashrrev_i32_e32 v1, 31, v0
	v_lshlrev_b64 v[2:3], 2, v[0:1]
	s_mov_b32 s16, 0
	s_waitcnt lgkmcnt(0)
	v_mov_b32_e32 v4, s15
	v_add_co_u32_e32 v2, vcc, s14, v2
	v_addc_co_u32_e32 v3, vcc, v4, v3, vcc
	global_load_dwordx2 v[8:9], v[2:3], off
	v_pk_mov_b32 v[2:3], 0, 0
	v_pk_mov_b32 v[4:5], v[2:3], v[2:3] op_sel:[0,1]
	v_pk_mov_b32 v[6:7], v[2:3], v[2:3] op_sel:[0,1]
	s_waitcnt vmcnt(0)
	v_sub_u32_e32 v10, v9, v8
	v_cmp_lt_i32_e32 vcc, 0, v10
	s_and_saveexec_b64 s[6:7], vcc
	s_cbranch_execz .LBB2_5
; %bb.2:
	s_load_dwordx2 s[18:19], s[4:5], 0x38
	s_load_dwordx4 s[0:3], s[4:5], 0x0
	s_load_dwordx2 s[14:15], s[4:5], 0x10
	v_ashrrev_i32_e32 v9, 31, v8
	v_lshlrev_b64 v[2:3], 2, v[8:9]
	s_waitcnt lgkmcnt(0)
	v_mov_b32_e32 v4, s19
	v_add_co_u32_e32 v8, vcc, s18, v2
	v_addc_co_u32_e32 v9, vcc, v4, v3, vcc
	v_pk_mov_b32 v[2:3], 0, 0
	s_mov_b64 s[4:5], 0
	v_mov_b32_e32 v11, s1
	v_mov_b32_e32 v12, s3
	;; [unrolled: 1-line block ×3, first 2 shown]
	v_pk_mov_b32 v[4:5], v[2:3], v[2:3] op_sel:[0,1]
	v_pk_mov_b32 v[6:7], v[2:3], v[2:3] op_sel:[0,1]
.LBB2_3:                                ; =>This Inner Loop Header: Depth=1
	global_load_dword v14, v[8:9], off
	s_add_i32 s16, s16, 1
	s_waitcnt vmcnt(0)
	v_ashrrev_i32_e32 v15, 31, v14
	v_lshlrev_b64 v[14:15], 3, v[14:15]
	v_add_co_u32_e32 v16, vcc, s0, v14
	v_addc_co_u32_e32 v17, vcc, v11, v15, vcc
	v_add_co_u32_e32 v18, vcc, s2, v14
	v_addc_co_u32_e32 v19, vcc, v12, v15, vcc
	;; [unrolled: 2-line block ×3, first 2 shown]
	global_load_dwordx2 v[20:21], v[16:17], off
	global_load_dwordx2 v[22:23], v[18:19], off
	;; [unrolled: 1-line block ×3, first 2 shown]
	v_add_co_u32_e32 v8, vcc, 4, v8
	v_addc_co_u32_e32 v9, vcc, 0, v9, vcc
	v_cmp_ge_i32_e32 vcc, s16, v10
	s_or_b64 s[4:5], vcc, s[4:5]
	s_waitcnt vmcnt(2)
	v_add_f64 v[6:7], v[6:7], v[20:21]
	s_waitcnt vmcnt(1)
	v_add_f64 v[4:5], v[4:5], v[22:23]
	;; [unrolled: 2-line block ×3, first 2 shown]
	s_andn2_b64 exec, exec, s[4:5]
	s_cbranch_execnz .LBB2_3
; %bb.4:
	s_or_b64 exec, exec, s[4:5]
.LBB2_5:
	s_or_b64 exec, exec, s[6:7]
	v_lshlrev_b64 v[0:1], 3, v[0:1]
	v_mov_b32_e32 v9, s9
	v_add_co_u32_e32 v8, vcc, s8, v0
	v_addc_co_u32_e32 v9, vcc, v9, v1, vcc
	global_store_dwordx2 v[8:9], v[6:7], off
	v_mov_b32_e32 v7, s11
	v_add_co_u32_e32 v6, vcc, s10, v0
	v_addc_co_u32_e32 v7, vcc, v7, v1, vcc
	global_store_dwordx2 v[6:7], v[4:5], off
	;; [unrolled: 4-line block ×3, first 2 shown]
.LBB2_6:
	s_endpgm
	.section	.rodata,"a",@progbits
	.p2align	6, 0x0
	.amdhsa_kernel _Z15acc_final_forcePKdS0_S0_PdS1_S1_PKiS3_i
		.amdhsa_group_segment_fixed_size 0
		.amdhsa_private_segment_fixed_size 0
		.amdhsa_kernarg_size 328
		.amdhsa_user_sgpr_count 6
		.amdhsa_user_sgpr_private_segment_buffer 1
		.amdhsa_user_sgpr_dispatch_ptr 0
		.amdhsa_user_sgpr_queue_ptr 0
		.amdhsa_user_sgpr_kernarg_segment_ptr 1
		.amdhsa_user_sgpr_dispatch_id 0
		.amdhsa_user_sgpr_flat_scratch_init 0
		.amdhsa_user_sgpr_kernarg_preload_length 0
		.amdhsa_user_sgpr_kernarg_preload_offset 0
		.amdhsa_user_sgpr_private_segment_size 0
		.amdhsa_uses_dynamic_stack 0
		.amdhsa_system_sgpr_private_segment_wavefront_offset 0
		.amdhsa_system_sgpr_workgroup_id_x 1
		.amdhsa_system_sgpr_workgroup_id_y 0
		.amdhsa_system_sgpr_workgroup_id_z 0
		.amdhsa_system_sgpr_workgroup_info 0
		.amdhsa_system_vgpr_workitem_id 0
		.amdhsa_next_free_vgpr 26
		.amdhsa_next_free_sgpr 20
		.amdhsa_accum_offset 28
		.amdhsa_reserve_vcc 1
		.amdhsa_reserve_flat_scratch 0
		.amdhsa_float_round_mode_32 0
		.amdhsa_float_round_mode_16_64 0
		.amdhsa_float_denorm_mode_32 3
		.amdhsa_float_denorm_mode_16_64 3
		.amdhsa_dx10_clamp 1
		.amdhsa_ieee_mode 1
		.amdhsa_fp16_overflow 0
		.amdhsa_tg_split 0
		.amdhsa_exception_fp_ieee_invalid_op 0
		.amdhsa_exception_fp_denorm_src 0
		.amdhsa_exception_fp_ieee_div_zero 0
		.amdhsa_exception_fp_ieee_overflow 0
		.amdhsa_exception_fp_ieee_underflow 0
		.amdhsa_exception_fp_ieee_inexact 0
		.amdhsa_exception_int_div_zero 0
	.end_amdhsa_kernel
	.text
.Lfunc_end2:
	.size	_Z15acc_final_forcePKdS0_S0_PdS1_S1_PKiS3_i, .Lfunc_end2-_Z15acc_final_forcePKdS0_S0_PdS1_S1_PKiS3_i
                                        ; -- End function
	.section	.AMDGPU.csdata,"",@progbits
; Kernel info:
; codeLenInByte = 448
; NumSgprs: 24
; NumVgprs: 26
; NumAgprs: 0
; TotalNumVgprs: 26
; ScratchSize: 0
; MemoryBound: 0
; FloatMode: 240
; IeeeMode: 1
; LDSByteSize: 0 bytes/workgroup (compile time only)
; SGPRBlocks: 2
; VGPRBlocks: 3
; NumSGPRsForWavesPerEU: 24
; NumVGPRsForWavesPerEU: 26
; AccumOffset: 28
; Occupancy: 8
; WaveLimiterHint : 1
; COMPUTE_PGM_RSRC2:SCRATCH_EN: 0
; COMPUTE_PGM_RSRC2:USER_SGPR: 6
; COMPUTE_PGM_RSRC2:TRAP_HANDLER: 0
; COMPUTE_PGM_RSRC2:TGID_X_EN: 1
; COMPUTE_PGM_RSRC2:TGID_Y_EN: 0
; COMPUTE_PGM_RSRC2:TGID_Z_EN: 0
; COMPUTE_PGM_RSRC2:TIDIG_COMP_CNT: 0
; COMPUTE_PGM_RSRC3_GFX90A:ACCUM_OFFSET: 6
; COMPUTE_PGM_RSRC3_GFX90A:TG_SPLIT: 0
	.text
	.protected	_Z3hgcPdS_S_S_S_S_S_PKdS1_S1_PKiS1_S1_Pii ; -- Begin function _Z3hgcPdS_S_S_S_S_S_PKdS1_S1_PKiS1_S1_Pii
	.globl	_Z3hgcPdS_S_S_S_S_S_PKdS1_S1_PKiS1_S1_Pii
	.p2align	8
	.type	_Z3hgcPdS_S_S_S_S_S_PKdS1_S1_PKiS1_S1_Pii,@function
_Z3hgcPdS_S_S_S_S_S_PKdS1_S1_PKiS1_S1_Pii: ; @_Z3hgcPdS_S_S_S_S_S_PKdS1_S1_PKiS1_S1_Pii
; %bb.0:
	s_mov_b64 s[38:39], s[2:3]
	s_mov_b64 s[36:37], s[0:1]
	s_load_dword s0, s[4:5], 0x84
	s_load_dword s1, s[4:5], 0x70
	s_add_u32 s36, s36, s7
	s_addc_u32 s37, s37, 0
	s_waitcnt lgkmcnt(0)
	s_and_b32 s0, s0, 0xffff
	s_mul_i32 s6, s6, s0
	v_add_u32_e32 v4, s6, v0
	v_cmp_gt_i32_e32 vcc, s1, v4
	s_and_saveexec_b64 s[0:1], vcc
	s_cbranch_execz .LBB3_3
; %bb.1:
	v_lshlrev_b32_e32 v0, 3, v4
	v_ashrrev_i32_e32 v1, 31, v0
	buffer_store_dword v0, off, s[36:39], 0 offset:80 ; 4-byte Folded Spill
	s_nop 0
	buffer_store_dword v1, off, s[36:39], 0 offset:84 ; 4-byte Folded Spill
	s_load_dwordx8 s[16:23], s[4:5], 0x40
	buffer_store_dword v4, off, s[36:39], 0 ; 4-byte Folded Spill
	s_nop 0
	buffer_store_dword v5, off, s[36:39], 0 offset:4 ; 4-byte Folded Spill
	s_load_dwordx8 s[8:15], s[4:5], 0x20
	s_load_dwordx8 s[24:31], s[4:5], 0x0
	s_mov_b32 s0, 0x55555555
	s_waitcnt lgkmcnt(0)
	v_mov_b32_e32 v2, s21
	v_mov_b32_e32 v58, s17
	;; [unrolled: 1-line block ×3, first 2 shown]
	s_mov_b32 s1, 0x3fb55555
	s_load_dwordx2 s[2:3], s[4:5], 0x60
	v_lshlrev_b64 v[0:1], 2, v[0:1]
	v_add_co_u32_e32 v4, vcc, s20, v0
	v_addc_co_u32_e32 v5, vcc, v2, v1, vcc
	global_load_dwordx4 v[0:3], v[4:5], off
	global_load_dwordx4 v[8:11], v[4:5], off offset:16
	s_waitcnt vmcnt(1)
	v_ashrrev_i32_e32 v5, 31, v0
	v_mov_b32_e32 v4, v0
	v_lshlrev_b64 v[32:33], 3, v[4:5]
	v_ashrrev_i32_e32 v13, 31, v1
	v_mov_b32_e32 v12, v1
	s_waitcnt vmcnt(0)
	v_ashrrev_i32_e32 v23, 31, v10
	v_mov_b32_e32 v22, v10
	v_add_co_u32_e32 v10, vcc, s14, v32
	v_ashrrev_i32_e32 v15, 31, v3
	v_mov_b32_e32 v14, v3
	v_ashrrev_i32_e32 v25, 31, v11
	v_mov_b32_e32 v24, v11
	v_lshlrev_b64 v[18:19], 3, v[12:13]
	v_addc_co_u32_e32 v11, vcc, v49, v33, vcc
	v_ashrrev_i32_e32 v1, 31, v2
	v_mov_b32_e32 v0, v2
	v_lshlrev_b64 v[20:21], 3, v[14:15]
	v_lshlrev_b64 v[14:15], 3, v[22:23]
	v_add_co_u32_e32 v22, vcc, s14, v18
	v_lshlrev_b64 v[16:17], 3, v[0:1]
	v_addc_co_u32_e32 v23, vcc, v49, v19, vcc
	v_add_co_u32_e32 v52, vcc, s14, v16
	v_addc_co_u32_e32 v53, vcc, v49, v17, vcc
	v_ashrrev_i32_e32 v3, 31, v8
	v_mov_b32_e32 v2, v8
	v_add_co_u32_e32 v54, vcc, s14, v20
	v_ashrrev_i32_e32 v7, 31, v9
	v_mov_b32_e32 v6, v9
	v_lshlrev_b64 v[8:9], 3, v[2:3]
	v_addc_co_u32_e32 v55, vcc, v49, v21, vcc
	v_add_co_u32_e32 v56, vcc, s14, v8
	v_addc_co_u32_e32 v57, vcc, v49, v9, vcc
	v_add_co_u32_e32 v34, vcc, s14, v14
	v_lshlrev_b64 v[12:13], 3, v[24:25]
	v_addc_co_u32_e32 v35, vcc, v49, v15, vcc
	v_add_co_u32_e32 v36, vcc, s14, v12
	v_addc_co_u32_e32 v37, vcc, v49, v13, vcc
	v_add_co_u32_e32 v38, vcc, s16, v32
	;; [unrolled: 2-line block ×6, first 2 shown]
	v_addc_co_u32_e32 v47, vcc, v58, v9, vcc
	global_load_dwordx2 v[2:3], v[34:35], off
	global_load_dwordx2 v[4:5], v[36:37], off
	;; [unrolled: 1-line block ×7, first 2 shown]
	v_add_co_u32_e32 v34, vcc, s16, v14
	v_addc_co_u32_e32 v35, vcc, v58, v15, vcc
	v_add_co_u32_e32 v40, vcc, s16, v12
	v_addc_co_u32_e32 v41, vcc, v58, v13, vcc
	v_mov_b32_e32 v0, s19
	v_add_co_u32_e32 v42, vcc, s18, v32
	v_addc_co_u32_e32 v43, vcc, v0, v33, vcc
	v_add_co_u32_e32 v18, vcc, s18, v18
	v_addc_co_u32_e32 v19, vcc, v0, v19, vcc
	;; [unrolled: 2-line block ×4, first 2 shown]
	global_load_dwordx2 v[36:37], v[42:43], off
	global_load_dwordx2 v[38:39], v[18:19], off
	;; [unrolled: 1-line block ×3, first 2 shown]
	v_add_co_u32_e32 v42, vcc, s18, v14
	v_addc_co_u32_e32 v43, vcc, v0, v15, vcc
	v_add_co_u32_e32 v44, vcc, s18, v12
	v_addc_co_u32_e32 v45, vcc, v0, v13, vcc
	v_add_co_u32_e32 v60, vcc, s18, v20
	global_load_dwordx2 v[8:9], v[8:9], off
	s_nop 0
	global_load_dwordx2 v[12:13], v[42:43], off
	global_load_dwordx2 v[14:15], v[44:45], off
	global_load_dwordx2 v[88:89], v[34:35], off
	global_load_dwordx2 v[90:91], v[40:41], off
	v_addc_co_u32_e32 v61, vcc, v0, v21, vcc
	global_load_dwordx2 v[44:45], v[10:11], off
	global_load_dwordx2 v[46:47], v[22:23], off
	;; [unrolled: 1-line block ×6, first 2 shown]
	v_lshlrev_b64 v[22:23], 3, v[6:7]
	v_add_co_u32_e32 v6, vcc, s18, v22
	v_addc_co_u32_e32 v7, vcc, v0, v23, vcc
	global_load_dwordx2 v[10:11], v[6:7], off
	v_add_co_u32_e32 v6, vcc, s16, v22
	v_addc_co_u32_e32 v7, vcc, v58, v23, vcc
	global_load_dwordx2 v[64:65], v[6:7], off
	;; [unrolled: 3-line block ×3, first 2 shown]
	s_waitcnt vmcnt(20)
	v_add_f64 v[94:95], v[28:29], v[30:31]
	s_waitcnt vmcnt(19)
	v_add_f64 v[22:23], v[30:31], v[84:85]
	s_waitcnt vmcnt(18)
	v_pk_mov_b32 v[48:49], v[84:85], v[84:85] op_sel:[0,1]
	v_pk_mov_b32 v[50:51], v[86:87], v[86:87] op_sel:[0,1]
	v_add_f64 v[72:73], v[28:29], v[50:51]
	s_waitcnt vmcnt(15)
	v_add_f64 v[60:61], v[36:37], v[38:39]
	s_waitcnt vmcnt(14)
	v_add_f64 v[66:67], v[38:39], v[32:33]
	v_mul_f64 v[54:55], v[94:95], v[66:67]
	v_fma_f64 v[58:59], v[22:23], v[60:61], -v[54:55]
	s_waitcnt vmcnt(1)
	v_pk_mov_b32 v[52:53], v[62:63], v[62:63] op_sel:[0,1]
	v_add_f64 v[24:25], v[28:29], v[52:53]
	v_pk_mov_b32 v[70:71], v[14:15], v[14:15] op_sel:[0,1]
	v_pk_mov_b32 v[68:69], v[12:13], v[12:13] op_sel:[0,1]
	v_add_f64 v[74:75], v[52:53], v[90:91]
	v_add_f64 v[92:93], v[50:51], v[90:91]
	;; [unrolled: 1-line block ×9, first 2 shown]
	v_pk_mov_b32 v[16:17], v[10:11], v[10:11] op_sel:[0,1]
	v_pk_mov_b32 v[14:15], v[8:9], v[8:9] op_sel:[0,1]
	;; [unrolled: 1-line block ×4, first 2 shown]
	v_mul_f64 v[68:69], v[76:77], v[60:61]
	v_pk_mov_b32 v[54:55], v[64:65], v[64:65] op_sel:[0,1]
	v_add_f64 v[64:65], v[84:85], v[88:89]
	buffer_store_dword v88, off, s[36:39], 0 offset:8 ; 4-byte Folded Spill
	s_nop 0
	buffer_store_dword v89, off, s[36:39], 0 offset:12 ; 4-byte Folded Spill
	buffer_store_dword v90, off, s[36:39], 0 offset:16 ; 4-byte Folded Spill
	;; [unrolled: 1-line block ×3, first 2 shown]
	v_add_f64 v[62:63], v[44:45], v[46:47]
	v_pk_mov_b32 v[12:13], v[8:9], v[8:9] op_sel:[0,1]
	v_fma_f64 v[70:71], v[62:63], v[66:67], -v[68:69]
	v_add_f64 v[68:69], v[44:45], v[18:19]
	v_pk_mov_b32 v[10:11], v[6:7], v[6:7] op_sel:[0,1]
	v_fma_f64 v[102:103], -v[68:69], v[78:79], v[70:71]
	v_add_f64 v[70:71], v[40:41], v[2:3]
	v_add_f64 v[106:107], v[34:35], v[12:13]
	v_mul_f64 v[84:85], v[72:73], v[60:61]
	v_fma_f64 v[114:115], v[94:95], v[82:83], -v[84:85]
	v_add_f64 v[84:85], v[44:45], v[42:43]
	v_mul_f64 v[86:87], v[62:63], v[82:83]
	v_fma_f64 v[86:87], v[84:85], v[60:61], -v[86:87]
	v_fmac_f64_e32 v[58:59], v[24:25], v[78:79]
	v_fma_f64 v[98:99], -v[96:97], v[100:101], v[86:87]
	v_fma_f64 v[58:59], -v[74:75], v[56:57], v[58:59]
	v_fmac_f64_e32 v[102:103], v[80:81], v[56:57]
	v_fma_f64 v[58:59], -v[64:65], v[100:101], v[58:59]
	v_fmac_f64_e32 v[102:103], v[70:71], v[100:101]
	v_fmac_f64_e32 v[114:115], v[92:93], v[100:101]
	v_add_f64 v[110:111], v[30:31], v[54:55]
	s_waitcnt vmcnt(4)
	v_add_f64 v[112:113], v[46:47], v[20:21]
	v_add_f64 v[8:9], v[52:53], v[54:55]
	;; [unrolled: 1-line block ×4, first 2 shown]
	buffer_store_dword v10, off, s[36:39], 0 offset:40 ; 4-byte Folded Spill
	s_nop 0
	buffer_store_dword v11, off, s[36:39], 0 offset:44 ; 4-byte Folded Spill
	buffer_store_dword v12, off, s[36:39], 0 offset:48 ; 4-byte Folded Spill
	buffer_store_dword v13, off, s[36:39], 0 offset:52 ; 4-byte Folded Spill
	buffer_store_dword v2, off, s[36:39], 0 offset:24 ; 4-byte Folded Spill
	s_nop 0
	buffer_store_dword v3, off, s[36:39], 0 offset:28 ; 4-byte Folded Spill
	buffer_store_dword v4, off, s[36:39], 0 offset:32 ; 4-byte Folded Spill
	buffer_store_dword v5, off, s[36:39], 0 offset:36 ; 4-byte Folded Spill
	;; [unrolled: 5-line block ×3, first 2 shown]
	v_add_f64 v[88:89], v[54:55], v[88:89]
	v_mul_f64 v[86:87], v[116:117], v[90:91]
	v_fma_f64 v[86:87], v[88:89], v[100:101], -v[86:87]
	v_fmac_f64_e32 v[86:87], v[92:93], v[82:83]
	v_fma_f64 v[86:87], -v[72:73], v[106:107], v[86:87]
	v_fma_f64 v[86:87], -v[110:111], v[60:61], v[86:87]
	;; [unrolled: 1-line block ×4, first 2 shown]
	v_add_f64 v[104:105], v[20:21], v[2:3]
	v_add_f64 v[118:119], v[2:3], v[4:5]
	v_mul_f64 v[108:109], v[104:105], v[100:101]
	v_fma_f64 v[108:109], v[118:119], v[90:91], -v[108:109]
	v_fma_f64 v[120:121], -v[96:97], v[82:83], v[108:109]
	v_mul_f64 v[108:109], v[118:119], v[78:79]
	v_fma_f64 v[108:109], v[80:81], v[100:101], -v[108:109]
	v_mul_f64 v[100:101], v[74:75], v[100:101]
	v_fmac_f64_e32 v[120:121], v[84:85], v[106:107]
	v_fma_f64 v[122:123], v[116:117], v[78:79], -v[100:101]
	v_fmac_f64_e32 v[120:121], v[112:113], v[60:61]
	v_fmac_f64_e32 v[122:123], v[24:25], v[60:61]
	v_fma_f64 v[124:125], -v[68:69], v[60:61], v[108:109]
	v_mul_f64 v[60:61], v[62:63], v[22:23]
	v_fma_f64 v[60:61], v[76:77], v[94:95], -v[60:61]
	v_fma_f64 v[60:61], -v[80:81], v[24:25], v[60:61]
	v_fmac_f64_e32 v[60:61], v[68:69], v[74:75]
	v_fmac_f64_e32 v[60:61], v[118:119], v[64:65]
	v_fma_f64 v[26:27], -v[70:71], v[116:117], v[60:61]
	v_mul_f64 v[60:61], v[84:85], v[94:95]
	v_fma_f64 v[60:61], v[62:63], v[72:73], -v[60:61]
	v_add_f64 v[108:109], v[32:33], v[10:11]
	v_fma_f64 v[60:61], -v[118:119], v[92:93], v[60:61]
	v_mul_f64 v[114:115], v[118:119], v[88:89]
	v_fmac_f64_e32 v[58:59], v[116:117], v[108:109]
	v_fmac_f64_e32 v[60:61], v[96:97], v[116:117]
	v_fma_f64 v[114:115], v[104:105], v[116:117], -v[114:115]
	v_mul_f64 v[116:117], v[80:81], v[116:117]
	v_fma_f64 v[12:13], -v[118:119], v[108:109], v[102:103]
	v_fmac_f64_e32 v[98:99], v[118:119], v[106:107]
	v_fma_f64 v[118:119], v[118:119], v[74:75], -v[116:117]
	v_add_f64 v[116:117], v[38:39], v[16:17]
	v_fma_f64 v[0:1], -v[62:63], v[116:117], v[120:121]
	buffer_store_dword v0, off, s[36:39], 0 offset:72 ; 4-byte Folded Spill
	s_nop 0
	buffer_store_dword v1, off, s[36:39], 0 offset:76 ; 4-byte Folded Spill
	v_pk_mov_b32 v[102:103], v[50:51], v[50:51] op_sel:[0,1]
	v_pk_mov_b32 v[100:101], v[48:49], v[48:49] op_sel:[0,1]
	v_add_f64 v[0:1], v[32:33], v[34:35]
	v_add_f64 v[48:49], v[100:101], v[102:103]
	v_mul_f64 v[2:3], v[22:23], v[0:1]
	v_fma_f64 v[114:115], -v[84:85], v[92:93], v[114:115]
	v_fma_f64 v[2:3], v[48:49], v[66:67], -v[2:3]
	v_add_f64 v[6:7], v[14:15], v[16:17]
	v_fmac_f64_e32 v[114:115], v[96:97], v[72:73]
	v_fmac_f64_e32 v[2:3], v[110:111], v[6:7]
	;; [unrolled: 1-line block ×3, first 2 shown]
	v_fma_f64 v[2:3], -v[8:9], v[116:117], v[2:3]
	v_fma_f64 v[118:119], -v[62:63], v[24:25], v[118:119]
	;; [unrolled: 1-line block ×4, first 2 shown]
	v_add_f64 v[2:3], v[40:41], v[42:43]
	v_fmac_f64_e32 v[86:87], v[94:95], v[116:117]
	v_fma_f64 v[122:123], -v[94:95], v[56:57], v[122:123]
	v_fmac_f64_e32 v[118:119], v[68:69], v[94:95]
	v_mul_f64 v[94:95], v[2:3], v[66:67]
	v_fma_f64 v[94:95], v[76:77], v[0:1], -v[94:95]
	v_fma_f64 v[94:95], -v[112:113], v[6:7], v[94:95]
	v_add_f64 v[4:5], v[18:19], v[20:21]
	v_fmac_f64_e32 v[94:95], v[4:5], v[116:117]
	v_mul_f64 v[10:11], v[80:81], v[6:7]
	v_fmac_f64_e32 v[94:95], v[96:97], v[78:79]
	v_fma_f64 v[10:11], v[4:5], v[78:79], -v[10:11]
	v_mul_f64 v[78:79], v[8:9], v[78:79]
	v_fmac_f64_e32 v[124:125], v[62:63], v[56:57]
	v_fma_f64 v[78:79], v[74:75], v[6:7], -v[78:79]
	v_fma_f64 v[122:123], -v[64:65], v[66:67], v[122:123]
	v_fmac_f64_e32 v[124:125], v[70:71], v[66:67]
	v_fmac_f64_e32 v[78:79], v[110:111], v[66:67]
	v_fma_f64 v[10:11], -v[112:113], v[66:67], v[10:11]
	v_mul_f64 v[66:67], v[76:77], v[48:49]
	v_fma_f64 v[66:67], v[2:3], v[22:23], -v[66:67]
	v_fma_f64 v[66:67], -v[4:5], v[110:111], v[66:67]
	v_fmac_f64_e32 v[66:67], v[112:113], v[8:9]
	v_fmac_f64_e32 v[66:67], v[80:81], v[92:93]
	v_fma_f64 v[62:63], -v[96:97], v[74:75], v[66:67]
	v_mul_f64 v[66:67], v[4:5], v[74:75]
	v_fma_f64 v[66:67], v[80:81], v[8:9], -v[66:67]
	v_fmac_f64_e32 v[10:11], v[76:77], v[116:117]
	v_pk_mov_b32 v[14:15], v[52:53], v[52:53] op_sel:[0,1]
	v_fma_f64 v[94:95], -v[80:81], v[106:107], v[94:95]
	v_fma_f64 v[80:81], -v[76:77], v[110:111], v[66:67]
	v_fmac_f64_e32 v[10:11], v[96:97], v[0:1]
	v_pk_mov_b32 v[16:17], v[54:55], v[54:55] op_sel:[0,1]
	v_fma_f64 v[66:67], -v[76:77], v[108:109], v[124:125]
	v_fmac_f64_e32 v[118:119], v[76:77], v[64:65]
	v_fma_f64 v[76:77], -v[22:23], v[116:117], v[78:79]
	v_fmac_f64_e32 v[80:81], v[112:113], v[22:23]
	v_fma_f64 v[78:79], -v[2:3], v[106:107], v[10:11]
	v_mul_f64 v[10:11], v[48:49], v[82:83]
	v_mul_f64 v[52:53], v[84:85], v[0:1]
	v_fma_f64 v[76:77], -v[92:93], v[0:1], v[76:77]
	v_fmac_f64_e32 v[80:81], v[2:3], v[92:93]
	v_fma_f64 v[10:11], v[72:73], v[0:1], -v[10:11]
	v_fma_f64 v[52:53], v[2:3], v[82:83], -v[52:53]
	v_mul_f64 v[92:93], v[88:89], v[6:7]
	v_fmac_f64_e32 v[98:99], v[112:113], v[90:91]
	v_fmac_f64_e32 v[10:11], v[64:65], v[90:91]
	v_fma_f64 v[52:53], -v[70:71], v[90:91], v[52:53]
	v_fma_f64 v[92:93], v[8:9], v[90:91], -v[92:93]
	v_mul_f64 v[90:91], v[4:5], v[90:91]
	v_fma_f64 v[90:91], v[104:105], v[6:7], -v[90:91]
	v_fmac_f64_e32 v[92:93], v[64:65], v[0:1]
	v_fma_f64 v[0:1], -v[70:71], v[0:1], v[90:91]
	v_mul_f64 v[90:91], v[2:3], v[72:73]
	v_fma_f64 v[90:91], v[84:85], v[48:49], -v[90:91]
	v_fmac_f64_e32 v[60:61], v[104:105], v[110:111]
	v_fma_f64 v[80:81], -v[96:97], v[48:49], v[80:81]
	v_fma_f64 v[90:91], -v[104:105], v[64:65], v[90:91]
	v_mul_f64 v[96:97], v[104:105], v[8:9]
	v_fmac_f64_e32 v[126:127], v[88:89], v[116:117]
	v_fma_f64 v[60:61], -v[112:113], v[88:89], v[60:61]
	v_fma_f64 v[10:11], -v[88:89], v[108:109], v[10:11]
	v_fmac_f64_e32 v[90:91], v[70:71], v[88:89]
	v_fma_f64 v[88:89], v[4:5], v[88:89], -v[96:97]
	v_fmac_f64_e32 v[0:1], v[2:3], v[108:109]
	v_fma_f64 v[88:89], -v[2:3], v[64:65], v[88:89]
	v_fmac_f64_e32 v[0:1], v[68:69], v[82:83]
	v_fmac_f64_e32 v[114:115], v[74:75], v[106:107]
	v_fma_f64 v[74:75], -v[70:71], v[22:23], v[118:119]
	v_fmac_f64_e32 v[88:89], v[70:71], v[48:49]
	v_fma_f64 v[70:71], -v[84:85], v[56:57], v[0:1]
	buffer_load_dword v0, off, s[36:39], 0 offset:80 ; 4-byte Folded Reload
	buffer_load_dword v1, off, s[36:39], 0 offset:84 ; 4-byte Folded Reload
	v_fmac_f64_e32 v[52:53], v[104:105], v[108:109]
	v_fma_f64 v[2:3], -v[48:49], v[108:109], v[92:93]
	v_fma_f64 v[10:11], -v[24:25], v[6:7], v[10:11]
	v_fmac_f64_e32 v[52:53], v[68:69], v[6:7]
	v_fmac_f64_e32 v[10:11], v[8:9], v[56:57]
	v_fma_f64 v[64:65], -v[24:25], v[82:83], v[2:3]
	v_mov_b32_e32 v2, s25
	v_fma_f64 v[6:7], -v[4:5], v[56:57], v[52:53]
	v_mul_f64 v[52:53], v[114:115], s[0:1]
	v_mul_f64 v[54:55], v[10:11], s[0:1]
	v_fmac_f64_e32 v[64:65], v[72:73], v[56:57]
	v_mul_f64 v[56:57], v[6:7], s[0:1]
	v_fmac_f64_e32 v[90:91], v[4:5], v[24:25]
	v_fma_f64 v[4:5], -v[68:69], v[8:9], v[90:91]
	v_fmac_f64_e32 v[88:89], v[84:85], v[24:25]
	v_mul_f64 v[84:85], v[4:5], s[0:1]
	v_fma_f64 v[98:99], -v[104:105], v[116:117], v[98:99]
	v_fmac_f64_e32 v[122:123], v[22:23], v[108:109]
	v_mul_f64 v[82:83], v[62:63], s[0:1]
	v_mul_f64 v[24:25], v[86:87], s[0:1]
	s_waitcnt lgkmcnt(0)
	v_mov_b32_e32 v3, s3
	v_fmac_f64_e32 v[76:77], v[48:49], v[106:107]
	v_fma_f64 v[68:69], -v[68:69], v[72:73], v[88:89]
	s_waitcnt vmcnt(0)
	v_lshlrev_b64 v[0:1], 3, v[0:1]
	v_add_co_u32_e32 v50, vcc, s24, v0
	v_addc_co_u32_e32 v51, vcc, v2, v1, vcc
	global_store_dwordx4 v[50:51], v[52:55], off
	v_mov_b32_e32 v2, s27
	v_add_co_u32_e32 v52, vcc, s26, v0
	v_mul_f64 v[54:55], v[94:95], s[0:1]
	v_addc_co_u32_e32 v53, vcc, v2, v1, vcc
	global_store_dwordx4 v[52:53], v[54:57], off
	v_mov_b32_e32 v2, s29
	v_add_co_u32_e32 v54, vcc, s28, v0
	v_addc_co_u32_e32 v55, vcc, v2, v1, vcc
	v_mov_b32_e32 v2, s31
	v_add_co_u32_e32 v56, vcc, s30, v0
	v_addc_co_u32_e32 v57, vcc, v2, v1, vcc
	buffer_load_dword v4, off, s[36:39], 0  ; 4-byte Folded Reload
	buffer_load_dword v5, off, s[36:39], 0 offset:4 ; 4-byte Folded Reload
	v_mov_b32_e32 v2, s9
	global_store_dwordx4 v[56:57], v[44:47], off
	global_store_dwordx4 v[54:55], v[82:85], off
	v_add_co_u32_e32 v44, vcc, s8, v0
	v_addc_co_u32_e32 v45, vcc, v2, v1, vcc
	global_store_dwordx4 v[44:45], v[28:31], off
	v_mov_b32_e32 v2, s11
	v_mul_f64 v[30:31], v[58:59], s[0:1]
	v_mul_f64 v[28:29], v[126:127], s[0:1]
	v_add_co_u32_e32 v46, vcc, s10, v0
	global_store_dwordx4 v[50:51], v[28:31], off offset:16
	v_addc_co_u32_e32 v47, vcc, v2, v1, vcc
	v_mul_f64 v[30:31], v[12:13], s[0:1]
	v_mul_f64 v[28:29], v[98:99], s[0:1]
	global_store_dwordx4 v[52:53], v[28:31], off offset:16
	global_store_dwordx4 v[46:47], v[36:39], off
	v_mul_f64 v[30:31], v[26:27], s[0:1]
	v_mul_f64 v[28:29], v[60:61], s[0:1]
	;; [unrolled: 1-line block ×3, first 2 shown]
	global_store_dwordx4 v[54:55], v[28:31], off offset:16
	global_store_dwordx4 v[56:57], v[40:43], off offset:16
	;; [unrolled: 1-line block ×5, first 2 shown]
	buffer_load_dword v0, off, s[36:39], 0 offset:72 ; 4-byte Folded Reload
	buffer_load_dword v1, off, s[36:39], 0 offset:76 ; 4-byte Folded Reload
	v_mul_f64 v[42:43], v[66:67], s[0:1]
	v_mul_f64 v[36:37], v[120:121], s[0:1]
	;; [unrolled: 1-line block ×9, first 2 shown]
	s_waitcnt vmcnt(13)
	v_ashrrev_i32_e32 v5, 31, v4
	s_waitcnt vmcnt(0)
	v_mul_f64 v[40:41], v[0:1], s[0:1]
	global_store_dwordx4 v[52:53], v[40:43], off offset:32
	v_mov_b32_e32 v1, s23
	v_lshlrev_b64 v[40:41], 3, v[4:5]
	v_add_co_u32_e32 v0, vcc, s22, v40
	v_addc_co_u32_e32 v1, vcc, v1, v41, vcc
	v_add_co_u32_e32 v2, vcc, s2, v40
	v_addc_co_u32_e32 v3, vcc, v3, v41, vcc
	global_load_dwordx2 v[58:59], v[0:1], off
	global_load_dwordx2 v[42:43], v[2:3], off
	s_nop 0
	global_store_dwordx4 v[54:55], v[36:39], off offset:32
	global_store_dwordx4 v[56:57], v[18:21], off offset:32
	;; [unrolled: 1-line block ×3, first 2 shown]
	buffer_load_dword v0, off, s[36:39], 0 offset:56 ; 4-byte Folded Reload
	buffer_load_dword v1, off, s[36:39], 0 offset:60 ; 4-byte Folded Reload
	;; [unrolled: 1-line block ×4, first 2 shown]
	s_waitcnt vmcnt(0)
	global_store_dwordx4 v[46:47], v[0:3], off offset:32
	global_store_dwordx4 v[50:51], v[24:27], off offset:48
	;; [unrolled: 1-line block ×4, first 2 shown]
	buffer_load_dword v0, off, s[36:39], 0 offset:24 ; 4-byte Folded Reload
	s_nop 0
	buffer_load_dword v1, off, s[36:39], 0 offset:28 ; 4-byte Folded Reload
	buffer_load_dword v2, off, s[36:39], 0 offset:32 ; 4-byte Folded Reload
	buffer_load_dword v3, off, s[36:39], 0 offset:36 ; 4-byte Folded Reload
	s_waitcnt vmcnt(0)
	global_store_dwordx4 v[56:57], v[0:3], off offset:48
	buffer_load_dword v0, off, s[36:39], 0 offset:8 ; 4-byte Folded Reload
	s_nop 0
	buffer_load_dword v1, off, s[36:39], 0 offset:12 ; 4-byte Folded Reload
	buffer_load_dword v2, off, s[36:39], 0 offset:16 ; 4-byte Folded Reload
	buffer_load_dword v3, off, s[36:39], 0 offset:20 ; 4-byte Folded Reload
	s_waitcnt vmcnt(0)
	global_store_dwordx4 v[44:45], v[0:3], off offset:48
	;; [unrolled: 7-line block ×3, first 2 shown]
	s_nop 0
	v_mov_b32_e32 v3, s13
	v_add_co_u32_e32 v2, vcc, s12, v40
	v_addc_co_u32_e32 v3, vcc, v3, v41, vcc
	v_mul_f64 v[0:1], v[58:59], v[42:43]
	v_cmp_ge_f64_e32 vcc, 0, v[42:43]
	global_store_dwordx2 v[2:3], v[0:1], off
	s_and_b64 exec, exec, vcc
	s_cbranch_execz .LBB3_3
; %bb.2:
	s_load_dwordx2 s[0:1], s[4:5], 0x68
	v_mov_b32_e32 v0, 0
	s_waitcnt lgkmcnt(0)
	global_store_dword v0, v4, s[0:1]
.LBB3_3:
	s_endpgm
	.section	.rodata,"a",@progbits
	.p2align	6, 0x0
	.amdhsa_kernel _Z3hgcPdS_S_S_S_S_S_PKdS1_S1_PKiS1_S1_Pii
		.amdhsa_group_segment_fixed_size 0
		.amdhsa_private_segment_fixed_size 92
		.amdhsa_kernarg_size 376
		.amdhsa_user_sgpr_count 6
		.amdhsa_user_sgpr_private_segment_buffer 1
		.amdhsa_user_sgpr_dispatch_ptr 0
		.amdhsa_user_sgpr_queue_ptr 0
		.amdhsa_user_sgpr_kernarg_segment_ptr 1
		.amdhsa_user_sgpr_dispatch_id 0
		.amdhsa_user_sgpr_flat_scratch_init 0
		.amdhsa_user_sgpr_kernarg_preload_length 0
		.amdhsa_user_sgpr_kernarg_preload_offset 0
		.amdhsa_user_sgpr_private_segment_size 0
		.amdhsa_uses_dynamic_stack 0
		.amdhsa_system_sgpr_private_segment_wavefront_offset 1
		.amdhsa_system_sgpr_workgroup_id_x 1
		.amdhsa_system_sgpr_workgroup_id_y 0
		.amdhsa_system_sgpr_workgroup_id_z 0
		.amdhsa_system_sgpr_workgroup_info 0
		.amdhsa_system_vgpr_workitem_id 0
		.amdhsa_next_free_vgpr 128
		.amdhsa_next_free_sgpr 40
		.amdhsa_accum_offset 128
		.amdhsa_reserve_vcc 1
		.amdhsa_reserve_flat_scratch 0
		.amdhsa_float_round_mode_32 0
		.amdhsa_float_round_mode_16_64 0
		.amdhsa_float_denorm_mode_32 3
		.amdhsa_float_denorm_mode_16_64 3
		.amdhsa_dx10_clamp 1
		.amdhsa_ieee_mode 1
		.amdhsa_fp16_overflow 0
		.amdhsa_tg_split 0
		.amdhsa_exception_fp_ieee_invalid_op 0
		.amdhsa_exception_fp_denorm_src 0
		.amdhsa_exception_fp_ieee_div_zero 0
		.amdhsa_exception_fp_ieee_overflow 0
		.amdhsa_exception_fp_ieee_underflow 0
		.amdhsa_exception_fp_ieee_inexact 0
		.amdhsa_exception_int_div_zero 0
	.end_amdhsa_kernel
	.text
.Lfunc_end3:
	.size	_Z3hgcPdS_S_S_S_S_S_PKdS1_S1_PKiS1_S1_Pii, .Lfunc_end3-_Z3hgcPdS_S_S_S_S_S_PKdS1_S1_PKiS1_S1_Pii
                                        ; -- End function
	.section	.AMDGPU.csdata,"",@progbits
; Kernel info:
; codeLenInByte = 3116
; NumSgprs: 44
; NumVgprs: 128
; NumAgprs: 0
; TotalNumVgprs: 128
; ScratchSize: 92
; MemoryBound: 0
; FloatMode: 240
; IeeeMode: 1
; LDSByteSize: 0 bytes/workgroup (compile time only)
; SGPRBlocks: 5
; VGPRBlocks: 15
; NumSGPRsForWavesPerEU: 44
; NumVGPRsForWavesPerEU: 128
; AccumOffset: 128
; Occupancy: 4
; WaveLimiterHint : 0
; COMPUTE_PGM_RSRC2:SCRATCH_EN: 1
; COMPUTE_PGM_RSRC2:USER_SGPR: 6
; COMPUTE_PGM_RSRC2:TRAP_HANDLER: 0
; COMPUTE_PGM_RSRC2:TGID_X_EN: 1
; COMPUTE_PGM_RSRC2:TGID_Y_EN: 0
; COMPUTE_PGM_RSRC2:TGID_Z_EN: 0
; COMPUTE_PGM_RSRC2:TIDIG_COMP_CNT: 0
; COMPUTE_PGM_RSRC3_GFX90A:ACCUM_OFFSET: 31
; COMPUTE_PGM_RSRC3_GFX90A:TG_SPLIT: 0
	.text
	.protected	_Z2fbPKdS0_S0_S0_S0_S0_S0_S0_S0_S0_S0_S0_PKiS0_PdS3_S3_di ; -- Begin function _Z2fbPKdS0_S0_S0_S0_S0_S0_S0_S0_S0_S0_S0_PKiS0_PdS3_S3_di
	.globl	_Z2fbPKdS0_S0_S0_S0_S0_S0_S0_S0_S0_S0_S0_PKiS0_PdS3_S3_di
	.p2align	8
	.type	_Z2fbPKdS0_S0_S0_S0_S0_S0_S0_S0_S0_S0_S0_PKiS0_PdS3_S3_di,@function
_Z2fbPKdS0_S0_S0_S0_S0_S0_S0_S0_S0_S0_S0_PKiS0_PdS3_S3_di: ; @_Z2fbPKdS0_S0_S0_S0_S0_S0_S0_S0_S0_S0_S0_PKiS0_PdS3_S3_di
; %bb.0:
	s_mov_b64 s[98:99], s[2:3]
	s_mov_b64 s[96:97], s[0:1]
	s_load_dword s0, s[4:5], 0xa4
	s_load_dword s1, s[4:5], 0x90
	s_add_u32 s96, s96, s7
	s_addc_u32 s97, s97, 0
	s_waitcnt lgkmcnt(0)
	s_and_b32 s0, s0, 0xffff
	s_mul_i32 s6, s6, s0
	v_add_u32_e32 v0, s6, v0
	v_cmp_gt_i32_e32 vcc, s1, v0
	s_and_saveexec_b64 s[0:1], vcc
	s_cbranch_execz .LBB4_2
; %bb.1:
	s_load_dwordx8 s[20:27], s[4:5], 0x60
	s_load_dwordx8 s[80:87], s[4:5], 0x20
	v_ashrrev_i32_e32 v1, 31, v0
	v_lshlrev_b64 v[20:21], 3, v[0:1]
	v_lshlrev_b32_e32 v4, 3, v0
	v_ashrrev_i32_e32 v5, 31, v4
	s_waitcnt lgkmcnt(0)
	v_mov_b32_e32 v1, s85
	v_add_co_u32_e32 v0, vcc, s84, v20
	v_addc_co_u32_e32 v1, vcc, v1, v21, vcc
	global_load_dwordx2 v[42:43], v[0:1], off
	v_lshlrev_b64 v[30:31], 3, v[4:5]
	v_mov_b32_e32 v0, s81
	v_add_co_u32_e32 v22, vcc, s80, v30
	v_addc_co_u32_e32 v23, vcc, v0, v31, vcc
	v_lshlrev_b64 v[4:5], 2, v[4:5]
	v_mov_b32_e32 v6, s21
	v_add_co_u32_e32 v28, vcc, s20, v4
	v_addc_co_u32_e32 v29, vcc, v6, v5, vcc
	global_load_dwordx4 v[122:125], v[22:23], off
	global_load_dwordx4 v[0:3], v[28:29], off
	global_load_dwordx4 v[8:11], v[22:23], off offset:16
	global_load_dwordx4 v[16:19], v[22:23], off offset:32
	;; [unrolled: 1-line block ×3, first 2 shown]
	s_load_dwordx8 s[64:71], s[4:5], 0x0
	s_load_dwordx4 s[28:31], s[4:5], 0x80
	s_load_dwordx8 s[88:95], s[4:5], 0x40
	s_load_dwordx16 s[36:51], s[22:23], 0x0
	s_nop 0
	s_load_dwordx16 s[4:19], s[22:23], 0x40
	v_mov_b32_e32 v58, 0x198
	s_waitcnt lgkmcnt(0)
	v_mov_b32_e32 v24, s71
	v_mov_b32_e32 v25, s65
	;; [unrolled: 1-line block ×3, first 2 shown]
	v_add_co_u32_e32 v22, vcc, s92, v20
	v_addc_co_u32_e32 v23, vcc, v23, v21, vcc
	v_mov_b32_e32 v27, s95
	v_add_co_u32_e32 v20, vcc, s94, v20
	v_addc_co_u32_e32 v21, vcc, v27, v21, vcc
	global_load_dwordx2 v[50:51], v[22:23], off
	global_load_dwordx2 v[52:53], v[20:21], off
	v_add_co_u32_e32 v48, vcc, s70, v30
	v_addc_co_u32_e32 v49, vcc, v24, v31, vcc
	v_add_co_u32_e32 v44, vcc, s64, v30
	v_addc_co_u32_e32 v45, vcc, v25, v31, vcc
	v_mov_b32_e32 v26, s67
	v_add_co_u32_e32 v46, vcc, s66, v30
	v_addc_co_u32_e32 v47, vcc, v26, v31, vcc
	v_mov_b32_e32 v119, s87
	v_pk_mov_b32 v[78:79], v[30:31], v[30:31] op_sel:[0,1]
	global_load_dwordx4 v[24:27], v[48:49], off
	global_load_dwordx4 v[20:23], v[48:49], off offset:16
	s_nop 0
	global_load_dwordx4 v[28:31], v[28:29], off offset:16
	v_mov_b32_e32 v118, s91
	s_waitcnt vmcnt(10)
	v_frexp_exp_i32_f64_e32 v54, v[42:43]
	v_cvt_f32_i32_e32 v59, v54
	v_div_scale_f64 v[36:37], s[0:1], v[42:43], v[42:43], 1.0
	v_rcp_f64_e32 v[4:5], v[36:37]
	v_div_scale_f64 v[38:39], vcc, 1.0, v[42:43], 1.0
	v_fma_f64 v[60:61], -v[36:37], v[4:5], 1.0
	v_fmac_f64_e32 v[4:5], v[4:5], v[60:61]
	s_waitcnt vmcnt(8)
	v_ashrrev_i32_e32 v33, 31, v0
	v_mov_b32_e32 v32, v0
	v_lshlrev_b64 v[64:65], 3, v[32:33]
	v_mul_f32_e32 v32, 0x3eaaaaab, v59
	v_rndne_f32_e32 v32, v32
	v_cvt_i32_f32_e32 v59, v32
	v_ashrrev_i32_e32 v35, 31, v1
	v_mov_b32_e32 v34, v1
	v_add_co_u32_e64 v54, s[0:1], s86, v64
	v_mul_lo_u32 v32, v59, -3
	v_ldexp_f64 v[66:67], |v[42:43]|, v32
	v_cvt_f32_f64_e32 v62, v[66:67]
	v_log_f32_e32 v62, v62
	v_lshlrev_b64 v[68:69], 3, v[34:35]
	v_addc_co_u32_e64 v55, s[0:1], v119, v65, s[0:1]
	v_mul_f32_e32 v60, 0x3eaaaaab, v62
	v_exp_f32_e32 v62, v60
	v_fma_f64 v[60:61], -v[36:37], v[4:5], 1.0
	v_fmac_f64_e32 v[4:5], v[4:5], v[60:61]
	v_mul_f64 v[60:61], v[38:39], v[4:5]
	v_cvt_f64_f32_e32 v[70:71], v62
	v_mul_f64 v[62:63], v[70:71], v[70:71]
	v_add_f64 v[72:73], v[70:71], v[70:71]
	v_fma_f64 v[74:75], -v[70:71], v[62:63], v[66:67]
	v_fmac_f64_e32 v[66:67], v[72:73], v[62:63]
	v_rcp_f64_e32 v[72:73], v[66:67]
	v_fma_f64 v[36:37], -v[36:37], v[60:61], v[38:39]
	v_div_fmas_f64 v[0:1], v[36:37], v[4:5], v[60:61]
	v_cmp_class_f64_e32 vcc, v[42:43], v58
	v_fma_f64 v[4:5], -v[66:67], v[72:73], 1.0
	v_fmac_f64_e32 v[72:73], v[4:5], v[72:73]
	v_fma_f64 v[4:5], -v[66:67], v[72:73], 1.0
	v_fmac_f64_e32 v[72:73], v[4:5], v[72:73]
	v_mul_f64 v[4:5], v[74:75], v[72:73]
	v_fma_f64 v[36:37], -v[66:67], v[4:5], v[74:75]
	v_fmac_f64_e32 v[4:5], v[36:37], v[72:73]
	v_fmac_f64_e32 v[70:71], v[70:71], v[4:5]
	v_ldexp_f64 v[4:5], v[70:71], v59
	v_add_co_u32_e64 v56, s[0:1], s86, v68
	v_cndmask_b32_e32 v66, v42, v4, vcc
	v_cndmask_b32_e32 v58, v43, v5, vcc
	v_mov_b32_e32 v4, 0x47ae147b
	v_mov_b32_e32 v5, 0xbf847ae1
	v_addc_co_u32_e64 v57, s[0:1], v119, v69, s[0:1]
	v_mul_f64 v[4:5], s[30:31], v[4:5]
	s_waitcnt vmcnt(4)
	v_mul_f64 v[4:5], v[4:5], v[50:51]
	s_brev_b32 s0, -2
	s_waitcnt vmcnt(3)
	v_mul_f64 v[4:5], v[4:5], v[52:53]
	v_bfi_b32 v67, s0, v58, v43
	v_div_scale_f64 v[52:53], s[0:1], v[66:67], v[66:67], v[4:5]
	v_rcp_f64_e32 v[70:71], v[52:53]
	global_load_dwordx4 v[32:35], v[46:47], off
	s_nop 0
	buffer_store_dword v0, off, s[96:99], 0 offset:136 ; 4-byte Folded Spill
	s_nop 0
	buffer_store_dword v1, off, s[96:99], 0 offset:140 ; 4-byte Folded Spill
	v_pk_mov_b32 v[6:7], v[2:3], v[2:3] op_sel:[0,1]
	v_mov_b32_e32 v2, s89
	v_add_co_u32_e32 v0, vcc, s88, v64
	v_fma_f64 v[60:61], -v[52:53], v[70:71], 1.0
	v_addc_co_u32_e32 v1, vcc, v2, v65, vcc
	v_fmac_f64_e32 v[70:71], v[70:71], v[60:61]
	global_load_dwordx4 v[36:39], v[46:47], off offset:16
	global_load_dwordx4 v[72:75], v[48:49], off offset:32
	v_fma_f64 v[60:61], -v[52:53], v[70:71], 1.0
	global_load_dwordx4 v[48:51], v[48:49], off offset:48
	s_nop 0
	buffer_store_dword v0, off, s[96:99], 0 offset:96 ; 4-byte Folded Spill
	s_nop 0
	buffer_store_dword v1, off, s[96:99], 0 offset:100 ; 4-byte Folded Spill
	v_fmac_f64_e32 v[70:71], v[70:71], v[60:61]
	v_div_scale_f64 v[60:61], vcc, v[4:5], v[66:67], v[4:5]
	v_add_co_u32_e64 v0, s[0:1], s88, v68
	v_mul_f64 v[76:77], v[60:61], v[70:71]
	v_addc_co_u32_e64 v1, s[0:1], v2, v69, s[0:1]
	v_fma_f64 v[52:53], -v[52:53], v[76:77], v[60:61]
	buffer_store_dword v0, off, s[96:99], 0 offset:144 ; 4-byte Folded Spill
	s_nop 0
	buffer_store_dword v1, off, s[96:99], 0 offset:148 ; 4-byte Folded Spill
	v_div_fmas_f64 v[76:77], v[52:53], v[70:71], v[76:77]
	v_add_co_u32_e32 v0, vcc, s90, v64
	v_addc_co_u32_e32 v1, vcc, v118, v65, vcc
	buffer_store_dword v0, off, s[96:99], 0 offset:8 ; 4-byte Folded Spill
	s_nop 0
	buffer_store_dword v1, off, s[96:99], 0 offset:12 ; 4-byte Folded Spill
	v_add_co_u32_e32 v0, vcc, s90, v68
	v_addc_co_u32_e32 v1, vcc, v118, v69, vcc
	buffer_store_dword v0, off, s[96:99], 0 offset:16 ; 4-byte Folded Spill
	s_nop 0
	buffer_store_dword v1, off, s[96:99], 0 offset:20 ; 4-byte Folded Spill
	s_load_dwordx16 s[52:67], s[22:23], 0x80
	buffer_store_dword v78, off, s[96:99], 0 ; 4-byte Folded Spill
	s_nop 0
	buffer_store_dword v79, off, s[96:99], 0 offset:4 ; 4-byte Folded Spill
	v_mov_b32_e32 v52, s83
	global_load_dwordx4 v[86:89], v[44:45], off
	global_load_dwordx4 v[96:99], v[44:45], off offset:16
	s_waitcnt vmcnt(20)
	v_mul_f64 v[112:113], v[26:27], s[38:39]
	v_mul_f64 v[114:115], v[26:27], s[6:7]
	s_waitcnt lgkmcnt(0)
	v_mul_f64 v[92:93], v[26:27], s[54:55]
	v_fmac_f64_e32 v[112:113], s[36:37], v[24:25]
	v_fmac_f64_e32 v[114:115], s[4:5], v[24:25]
	;; [unrolled: 1-line block ×3, first 2 shown]
	s_waitcnt vmcnt(19)
	v_fmac_f64_e32 v[112:113], s[40:41], v[20:21]
	v_fmac_f64_e32 v[114:115], s[8:9], v[20:21]
	;; [unrolled: 1-line block ×3, first 2 shown]
	global_load_dwordx4 v[100:103], v[44:45], off offset:32
	v_fmac_f64_e32 v[112:113], s[42:43], v[22:23]
	v_fmac_f64_e32 v[114:115], s[10:11], v[22:23]
	;; [unrolled: 1-line block ×3, first 2 shown]
	v_pk_mov_b32 v[62:63], v[122:123], v[122:123] op_sel:[0,1]
	v_pk_mov_b32 v[64:65], v[124:125], v[124:125] op_sel:[0,1]
	v_mul_f64 v[40:41], s[38:39], v[124:125]
	v_mul_f64 v[124:125], s[54:55], v[64:65]
	v_fmac_f64_e32 v[40:41], s[36:37], v[122:123]
	v_mul_f64 v[122:123], s[6:7], v[64:65]
	v_fmac_f64_e32 v[124:125], s[52:53], v[62:63]
	v_fmac_f64_e32 v[122:123], s[4:5], v[62:63]
	;; [unrolled: 1-line block ×20, first 2 shown]
	v_ashrrev_i32_e32 v53, 31, v6
	s_waitcnt vmcnt(18)
	v_mul_f64 v[70:71], v[40:41], v[32:33]
	v_mov_b32_e32 v3, v7
	v_mul_f64 v[90:91], v[122:123], v[34:35]
	s_waitcnt vmcnt(15)
	v_mul_f64 v[82:83], v[40:41], v[36:37]
	s_waitcnt vmcnt(14)
	v_fmac_f64_e32 v[92:93], s[60:61], v[72:73]
	v_fmac_f64_e32 v[112:113], s[44:45], v[72:73]
	;; [unrolled: 1-line block ×6, first 2 shown]
	s_waitcnt vmcnt(13)
	v_fmac_f64_e32 v[92:93], s[64:65], v[48:49]
	v_fmac_f64_e32 v[112:113], s[48:49], v[48:49]
	;; [unrolled: 1-line block ×6, first 2 shown]
	v_mul_f64 v[80:81], v[124:125], v[36:37]
	v_mul_f64 v[84:85], v[40:41], v[38:39]
	v_add_co_u32_e32 v108, vcc, s82, v78
	v_addc_co_u32_e32 v109, vcc, v52, v79, vcc
	v_mov_b32_e32 v52, s69
	v_add_co_u32_e32 v106, vcc, s68, v78
	s_load_dwordx16 s[68:83], s[22:23], 0xc0
	v_addc_co_u32_e32 v107, vcc, v52, v79, vcc
	v_mov_b32_e32 v52, v6
	v_mul_f64 v[78:79], v[40:41], v[34:35]
	s_waitcnt lgkmcnt(0)
	v_mul_f64 v[120:121], v[26:27], s[70:71]
	v_fmac_f64_e32 v[120:121], s[68:69], v[24:25]
	global_load_dwordx4 v[24:27], v[46:47], off offset:32
	v_fmac_f64_e32 v[120:121], s[72:73], v[20:21]
	v_fmac_f64_e32 v[120:121], s[74:75], v[22:23]
	global_load_dwordx4 v[20:23], v[46:47], off offset:48
	v_mul_f64 v[126:127], s[70:71], v[64:65]
	v_fmac_f64_e32 v[126:127], s[68:69], v[62:63]
	v_fmac_f64_e32 v[126:127], s[72:73], v[8:9]
	v_fmac_f64_e32 v[126:127], s[74:75], v[10:11]
	v_fmac_f64_e32 v[126:127], s[76:77], v[16:17]
	v_fmac_f64_e32 v[120:121], s[76:77], v[72:73]
	v_fmac_f64_e32 v[126:127], s[78:79], v[18:19]
	v_fmac_f64_e32 v[120:121], s[78:79], v[74:75]
	v_fmac_f64_e32 v[126:127], s[80:81], v[12:13]
	v_fmac_f64_e32 v[120:121], s[80:81], v[48:49]
	v_fmac_f64_e32 v[126:127], s[82:83], v[14:15]
	v_fmac_f64_e32 v[120:121], s[82:83], v[50:51]
	v_mul_f64 v[62:63], v[126:127], v[32:33]
	v_mul_f64 v[10:11], v[124:125], v[32:33]
	v_mul_f64 v[16:17], v[124:125], v[34:35]
	v_mul_f64 v[0:1], v[126:127], v[34:35]
	s_waitcnt vmcnt(4)
	v_fmac_f64_e32 v[62:63], v[120:121], v[86:87]
	v_mul_f64 v[74:75], v[122:123], v[32:33]
	v_mul_f64 v[6:7], v[122:123], v[36:37]
	v_fmac_f64_e32 v[10:11], v[92:93], v[86:87]
	v_fmac_f64_e32 v[16:17], v[92:93], v[88:89]
	v_pk_mov_b32 v[34:35], v[62:63], v[62:63] op_sel:[0,1]
	v_fmac_f64_e32 v[0:1], v[120:121], v[88:89]
	v_mul_f64 v[62:63], v[126:127], v[36:37]
	global_load_dwordx4 v[44:47], v[44:45], off offset:48
	v_mul_f64 v[8:9], v[122:123], v[38:39]
	v_fmac_f64_e32 v[70:71], v[112:113], v[86:87]
	v_fmac_f64_e32 v[74:75], v[114:115], v[86:87]
	v_pk_mov_b32 v[58:59], v[10:11], v[10:11] op_sel:[0,1]
	v_pk_mov_b32 v[94:95], v[16:17], v[16:17] op_sel:[0,1]
	v_mul_f64 v[86:87], v[124:125], v[38:39]
	v_pk_mov_b32 v[48:49], v[0:1], v[0:1] op_sel:[0,1]
	v_mul_f64 v[0:1], v[126:127], v[38:39]
	s_waitcnt vmcnt(4)
	v_fmac_f64_e32 v[82:83], v[112:113], v[96:97]
	v_fmac_f64_e32 v[6:7], v[114:115], v[96:97]
	;; [unrolled: 1-line block ×9, first 2 shown]
	v_pk_mov_b32 v[36:37], v[62:63], v[62:63] op_sel:[0,1]
	v_fmac_f64_e32 v[0:1], v[120:121], v[98:99]
	v_lshlrev_b64 v[110:111], 3, v[52:53]
	v_add_co_u32_e32 v52, vcc, s86, v110
	v_addc_co_u32_e32 v53, vcc, v119, v111, vcc
	v_add_co_u32_e32 v32, vcc, s88, v110
	v_addc_co_u32_e32 v33, vcc, v2, v111, vcc
	s_waitcnt vmcnt(2)
	v_mul_f64 v[12:13], v[126:127], v[26:27]
	v_mul_f64 v[18:19], v[40:41], v[24:25]
	;; [unrolled: 1-line block ×8, first 2 shown]
	v_fmac_f64_e32 v[12:13], v[120:121], v[102:103]
	v_fmac_f64_e32 v[18:19], v[112:113], v[100:101]
	;; [unrolled: 1-line block ×8, first 2 shown]
	v_pk_mov_b32 v[88:89], v[12:13], v[12:13] op_sel:[0,1]
	s_waitcnt vmcnt(1)
	v_mul_f64 v[102:103], v[40:41], v[20:21]
	v_mul_f64 v[104:105], v[40:41], v[22:23]
	;; [unrolled: 1-line block ×8, first 2 shown]
	global_load_dwordx4 v[20:23], v[108:109], off
	global_load_dwordx4 v[24:27], v[108:109], off offset:16
	s_waitcnt vmcnt(2)
	v_fmac_f64_e32 v[12:13], v[120:121], v[46:47]
	v_fmac_f64_e32 v[102:103], v[112:113], v[44:45]
	;; [unrolled: 1-line block ×5, first 2 shown]
	v_pk_mov_b32 v[40:41], v[12:13], v[12:13] op_sel:[0,1]
	v_fmac_f64_e32 v[104:105], v[112:113], v[46:47]
	v_fmac_f64_e32 v[100:101], v[114:115], v[46:47]
	;; [unrolled: 1-line block ×3, first 2 shown]
	v_add_co_u32_e32 v92, vcc, s90, v110
	v_ashrrev_i32_e32 v47, 31, v3
	v_mov_b32_e32 v46, v3
	v_addc_co_u32_e32 v93, vcc, v118, v111, vcc
	v_lshlrev_b64 v[46:47], 3, v[46:47]
	s_waitcnt vmcnt(1)
	v_mul_f64 v[14:15], s[38:39], v[22:23]
	v_mul_f64 v[38:39], s[6:7], v[22:23]
	;; [unrolled: 1-line block ×4, first 2 shown]
	v_fmac_f64_e32 v[14:15], s[36:37], v[20:21]
	v_fmac_f64_e32 v[38:39], s[4:5], v[20:21]
	;; [unrolled: 1-line block ×4, first 2 shown]
	s_waitcnt vmcnt(0)
	v_fmac_f64_e32 v[14:15], s[40:41], v[24:25]
	v_fmac_f64_e32 v[38:39], s[8:9], v[24:25]
	;; [unrolled: 1-line block ×8, first 2 shown]
	global_load_dwordx4 v[20:23], v[108:109], off offset:32
	global_load_dwordx4 v[24:27], v[108:109], off offset:48
	s_waitcnt vmcnt(1)
	v_fmac_f64_e32 v[14:15], s[44:45], v[20:21]
	v_fmac_f64_e32 v[38:39], s[12:13], v[20:21]
	;; [unrolled: 1-line block ×8, first 2 shown]
	global_load_dwordx4 v[20:23], v[106:107], off
	s_waitcnt vmcnt(1)
	v_fmac_f64_e32 v[44:45], s[64:65], v[24:25]
	v_fmac_f64_e32 v[12:13], s[80:81], v[24:25]
	;; [unrolled: 1-line block ×8, first 2 shown]
	global_load_dwordx4 v[24:27], v[106:107], off offset:16
	s_waitcnt vmcnt(1)
	v_fmac_f64_e32 v[58:59], v[44:45], v[20:21]
	v_fmac_f64_e32 v[94:95], v[44:45], v[22:23]
	;; [unrolled: 1-line block ×4, first 2 shown]
	buffer_store_dword v58, off, s[96:99], 0 offset:40 ; 4-byte Folded Spill
	s_nop 0
	buffer_store_dword v59, off, s[96:99], 0 offset:44 ; 4-byte Folded Spill
	buffer_store_dword v94, off, s[96:99], 0 offset:48 ; 4-byte Folded Spill
	s_nop 0
	buffer_store_dword v95, off, s[96:99], 0 offset:52 ; 4-byte Folded Spill
	;; [unrolled: 3-line block ×4, first 2 shown]
	v_fmac_f64_e32 v[70:71], v[14:15], v[20:21]
	v_fmac_f64_e32 v[78:79], v[14:15], v[22:23]
	;; [unrolled: 1-line block ×4, first 2 shown]
	global_load_dwordx4 v[20:23], v[106:107], off offset:32
	s_nop 0
	global_load_dwordx4 v[106:109], v[106:107], off offset:48
	s_waitcnt vmcnt(10)
	v_fmac_f64_e32 v[82:83], v[14:15], v[24:25]
	v_fmac_f64_e32 v[84:85], v[14:15], v[26:27]
	;; [unrolled: 1-line block ×5, first 2 shown]
	v_ashrrev_i32_e32 v25, 31, v30
	v_mov_b32_e32 v24, v30
	v_lshlrev_b64 v[24:25], 3, v[24:25]
	v_fmac_f64_e32 v[8:9], v[38:39], v[26:27]
	v_fmac_f64_e32 v[86:87], v[44:45], v[26:27]
	;; [unrolled: 1-line block ×3, first 2 shown]
	v_ashrrev_i32_e32 v27, 31, v31
	v_mov_b32_e32 v26, v31
	v_lshlrev_b64 v[112:113], 3, v[26:27]
	buffer_store_dword v36, off, s[96:99], 0 offset:64 ; 4-byte Folded Spill
	s_nop 0
	buffer_store_dword v37, off, s[96:99], 0 offset:68 ; 4-byte Folded Spill
	buffer_store_dword v0, off, s[96:99], 0 offset:56 ; 4-byte Folded Spill
	s_nop 0
	buffer_store_dword v1, off, s[96:99], 0 offset:60 ; 4-byte Folded Spill
	s_waitcnt vmcnt(5)
	v_fmac_f64_e32 v[18:19], v[14:15], v[20:21]
	v_fmac_f64_e32 v[10:11], v[38:39], v[20:21]
	;; [unrolled: 1-line block ×4, first 2 shown]
	v_ashrrev_i32_e32 v21, 31, v28
	v_mov_b32_e32 v20, v28
	v_add_co_u32_e32 v28, vcc, s86, v46
	v_fmac_f64_e32 v[96:97], v[14:15], v[22:23]
	v_fmac_f64_e32 v[16:17], v[38:39], v[22:23]
	;; [unrolled: 1-line block ×4, first 2 shown]
	v_ashrrev_i32_e32 v23, 31, v29
	v_mov_b32_e32 v22, v29
	v_addc_co_u32_e32 v29, vcc, v119, v47, vcc
	v_add_co_u32_e32 v48, vcc, s88, v46
	v_addc_co_u32_e32 v49, vcc, v2, v47, vcc
	v_add_co_u32_e32 v122, vcc, s90, v46
	v_addc_co_u32_e32 v123, vcc, v118, v47, vcc
	s_waitcnt vmcnt(4)
	v_fmac_f64_e32 v[102:103], v[14:15], v[106:107]
	v_fmac_f64_e32 v[104:105], v[14:15], v[108:109]
	v_lshlrev_b64 v[14:15], 3, v[20:21]
	v_add_co_u32_e32 v20, vcc, s86, v14
	v_addc_co_u32_e32 v21, vcc, v119, v15, vcc
	v_lshlrev_b64 v[110:111], 3, v[22:23]
	v_add_co_u32_e32 v22, vcc, s86, v110
	v_addc_co_u32_e32 v23, vcc, v119, v111, vcc
	v_add_co_u32_e32 v30, vcc, s86, v24
	v_addc_co_u32_e32 v31, vcc, v119, v25, vcc
	buffer_store_dword v116, off, s[96:99], 0 offset:80 ; 4-byte Folded Spill
	s_nop 0
	buffer_store_dword v117, off, s[96:99], 0 offset:84 ; 4-byte Folded Spill
	buffer_store_dword v88, off, s[96:99], 0 offset:72 ; 4-byte Folded Spill
	s_nop 0
	buffer_store_dword v89, off, s[96:99], 0 offset:76 ; 4-byte Folded Spill
	v_add_co_u32_e32 v26, vcc, s86, v112
	v_fmac_f64_e32 v[98:99], v[38:39], v[106:107]
	v_fmac_f64_e32 v[100:101], v[38:39], v[108:109]
	v_addc_co_u32_e32 v27, vcc, v119, v113, vcc
	global_load_dwordx2 v[58:59], v[52:53], off
	global_load_dwordx2 v[38:39], v[28:29], off
	s_nop 0
	global_load_dwordx2 v[52:53], v[56:57], off
	s_nop 0
	global_load_dwordx2 v[54:55], v[54:55], off
	s_nop 0
	global_load_dwordx2 v[94:95], v[20:21], off
	global_load_dwordx2 v[60:61], v[22:23], off
	global_load_dwordx2 v[28:29], v[30:31], off
	s_nop 0
	global_load_dwordx2 v[20:21], v[26:27], off
	v_fmac_f64_e32 v[62:63], v[12:13], v[106:107]
	v_fmac_f64_e32 v[40:41], v[12:13], v[108:109]
	v_add_co_u32_e32 v12, vcc, s88, v14
	v_addc_co_u32_e32 v13, vcc, v2, v15, vcc
	v_add_co_u32_e32 v46, vcc, s90, v14
	v_addc_co_u32_e32 v47, vcc, v118, v15, vcc
	v_div_fixup_f64 v[26:27], v[76:77], v[66:67], v[4:5]
	v_add_co_u32_e32 v4, vcc, s88, v110
	v_addc_co_u32_e32 v5, vcc, v2, v111, vcc
	v_add_co_u32_e32 v36, vcc, s90, v110
	v_addc_co_u32_e32 v37, vcc, v118, v111, vcc
	;; [unrolled: 2-line block ×4, first 2 shown]
	buffer_store_dword v62, off, s[96:99], 0 offset:128 ; 4-byte Folded Spill
	s_nop 0
	buffer_store_dword v63, off, s[96:99], 0 offset:132 ; 4-byte Folded Spill
	buffer_store_dword v40, off, s[96:99], 0 offset:88 ; 4-byte Folded Spill
	s_nop 0
	buffer_store_dword v41, off, s[96:99], 0 offset:92 ; 4-byte Folded Spill
	v_add_co_u32_e32 v0, vcc, s88, v112
	v_addc_co_u32_e32 v1, vcc, v2, v113, vcc
	buffer_load_dword v2, off, s[96:99], 0 offset:136 ; 4-byte Folded Reload
	buffer_load_dword v3, off, s[96:99], 0 offset:140 ; 4-byte Folded Reload
	s_waitcnt vmcnt(12)
	buffer_store_dword v38, off, s[96:99], 0 offset:120 ; 4-byte Folded Spill
	s_nop 0
	buffer_store_dword v39, off, s[96:99], 0 offset:124 ; 4-byte Folded Spill
	s_waitcnt vmcnt(9)
	buffer_store_dword v28, off, s[96:99], 0 offset:112 ; 4-byte Folded Spill
	s_nop 0
	buffer_store_dword v29, off, s[96:99], 0 offset:116 ; 4-byte Folded Spill
	;; [unrolled: 4-line block ×3, first 2 shown]
	v_add_co_u32_e32 v34, vcc, s90, v112
	v_addc_co_u32_e32 v35, vcc, v118, v113, vcc
	v_fmac_f64_e32 v[68:69], v[44:45], v[106:107]
	v_fmac_f64_e32 v[72:73], v[44:45], v[108:109]
	s_waitcnt vmcnt(6)
	v_div_fixup_f64 v[42:43], v[2:3], v[42:43], 1.0
	v_fma_f64 v[120:121], -v[42:43], v[90:91], s[6:7]
	v_fma_f64 v[114:115], -v[42:43], v[78:79], s[38:39]
	;; [unrolled: 1-line block ×4, first 2 shown]
	v_mul_f64 v[8:9], v[52:53], v[120:121]
	v_fma_f64 v[118:119], -v[42:43], v[70:71], s[36:37]
	v_fma_f64 v[116:117], -v[42:43], v[6:7], s[8:9]
	v_mul_f64 v[2:3], v[52:53], v[114:115]
	v_fmac_f64_e32 v[8:9], v[54:55], v[124:125]
	v_fma_f64 v[110:111], -v[42:43], v[82:83], s[40:41]
	v_fmac_f64_e32 v[2:3], v[54:55], v[118:119]
	v_fmac_f64_e32 v[8:9], v[58:59], v[116:117]
	v_fma_f64 v[30:31], -v[42:43], v[84:85], s[42:43]
	v_fma_f64 v[82:83], -v[42:43], v[10:11], s[12:13]
	v_fmac_f64_e32 v[2:3], v[58:59], v[110:111]
	v_fma_f64 v[18:19], -v[42:43], v[18:19], s[44:45]
	v_fma_f64 v[16:17], -v[42:43], v[16:17], s[14:15]
	v_fma_f64 v[62:63], -v[42:43], v[96:97], s[46:47]
	v_fma_f64 v[6:7], -v[42:43], v[98:99], s[16:17]
	v_fma_f64 v[14:15], -v[42:43], v[102:103], s[48:49]
	v_fma_f64 v[10:11], -v[42:43], v[100:101], s[18:19]
	v_fma_f64 v[40:41], -v[42:43], v[104:105], s[50:51]
	v_pk_mov_b32 v[44:45], v[30:31], v[30:31] op_sel:[0,1]
	global_load_dwordx2 v[100:101], v[32:33], off
	global_load_dwordx2 v[88:89], v[48:49], off
	v_pk_mov_b32 v[24:25], v[44:45], v[44:45] op_sel:[0,1]
	v_fma_f64 v[80:81], -v[42:43], v[80:81], s[56:57]
	v_fma_f64 v[86:87], -v[42:43], v[86:87], s[58:59]
	;; [unrolled: 1-line block ×4, first 2 shown]
	v_fmac_f64_e32 v[8:9], v[38:39], v[112:113]
	v_fmac_f64_e32 v[2:3], v[38:39], v[30:31]
	;; [unrolled: 1-line block ×7, first 2 shown]
	v_pk_mov_b32 v[30:31], v[18:19], v[18:19] op_sel:[0,1]
	v_pk_mov_b32 v[18:19], v[62:63], v[62:63] op_sel:[0,1]
	v_fmac_f64_e32 v[2:3], v[28:29], v[14:15]
	v_pk_mov_b32 v[62:63], v[16:17], v[16:17] op_sel:[0,1]
	v_fmac_f64_e32 v[8:9], v[20:21], v[10:11]
	;; [unrolled: 2-line block ×3, first 2 shown]
	v_mul_f64 v[96:97], v[8:9], v[124:125]
	v_mul_f64 v[66:67], v[8:9], v[120:121]
	;; [unrolled: 1-line block ×8, first 2 shown]
	v_fmac_f64_e32 v[96:97], v[2:3], v[118:119]
	v_fmac_f64_e32 v[66:67], v[2:3], v[114:115]
	;; [unrolled: 1-line block ×8, first 2 shown]
	buffer_load_dword v2, off, s[96:99], 0 offset:144 ; 4-byte Folded Reload
	buffer_load_dword v3, off, s[96:99], 0 offset:148 ; 4-byte Folded Reload
	v_pk_mov_b32 v[28:29], v[14:15], v[14:15] op_sel:[0,1]
	v_pk_mov_b32 v[32:33], v[28:29], v[28:29] op_sel:[0,1]
	;; [unrolled: 1-line block ×3, first 2 shown]
	s_waitcnt vmcnt(0)
	global_load_dwordx2 v[108:109], v[2:3], off
	s_nop 0
	buffer_load_dword v2, off, s[96:99], 0 offset:96 ; 4-byte Folded Reload
	buffer_load_dword v3, off, s[96:99], 0 offset:100 ; 4-byte Folded Reload
	s_waitcnt vmcnt(0)
	global_load_dwordx2 v[106:107], v[2:3], off
	global_load_dwordx2 v[102:103], v[12:13], off
	;; [unrolled: 1-line block ×4, first 2 shown]
	s_waitcnt vmcnt(0)
	buffer_store_dword v8, off, s[96:99], 0 offset:136 ; 4-byte Folded Spill
	s_nop 0
	buffer_store_dword v9, off, s[96:99], 0 offset:140 ; 4-byte Folded Spill
	global_load_dwordx2 v[2:3], v[0:1], off
	s_waitcnt vmcnt(0)
	buffer_store_dword v2, off, s[96:99], 0 offset:96 ; 4-byte Folded Spill
	s_nop 0
	buffer_store_dword v3, off, s[96:99], 0 offset:100 ; 4-byte Folded Spill
	v_mul_f64 v[0:1], v[108:109], v[120:121]
	v_mul_f64 v[16:17], v[108:109], v[114:115]
	v_fmac_f64_e32 v[0:1], v[106:107], v[124:125]
	v_fmac_f64_e32 v[16:17], v[106:107], v[118:119]
	;; [unrolled: 1-line block ×12, first 2 shown]
	v_pk_mov_b32 v[4:5], v[18:19], v[18:19] op_sel:[0,1]
	v_pk_mov_b32 v[12:13], v[6:7], v[6:7] op_sel:[0,1]
	v_fmac_f64_e32 v[0:1], v[2:3], v[38:39]
	v_fmac_f64_e32 v[16:17], v[2:3], v[40:41]
	v_mul_f64 v[14:15], v[0:1], v[112:113]
	v_mul_f64 v[126:127], v[0:1], v[124:125]
	;; [unrolled: 1-line block ×4, first 2 shown]
	v_fmac_f64_e32 v[14:15], v[16:17], v[44:45]
	v_mul_f64 v[8:9], v[0:1], v[82:83]
	v_mul_f64 v[6:7], v[0:1], v[62:63]
	v_pk_mov_b32 v[2:3], v[4:5], v[4:5] op_sel:[0,1]
	v_mul_f64 v[4:5], v[0:1], v[12:13]
	v_mul_f64 v[74:75], v[0:1], v[38:39]
	global_load_dwordx2 v[44:45], v[92:93], off
	s_nop 0
	global_load_dwordx2 v[122:123], v[122:123], off
	s_nop 0
	buffer_load_dword v0, off, s[96:99], 0 offset:16 ; 4-byte Folded Reload
	buffer_load_dword v1, off, s[96:99], 0 offset:20 ; 4-byte Folded Reload
	v_fmac_f64_e32 v[8:9], v[16:17], v[30:31]
	v_fmac_f64_e32 v[126:127], v[16:17], v[118:119]
	;; [unrolled: 1-line block ×7, first 2 shown]
	v_pk_mov_b32 v[16:17], v[32:33], v[32:33] op_sel:[0,1]
	s_waitcnt vmcnt(0)
	global_load_dwordx2 v[28:29], v[0:1], off
	s_nop 0
	buffer_load_dword v0, off, s[96:99], 0 offset:8 ; 4-byte Folded Reload
	buffer_load_dword v1, off, s[96:99], 0 offset:12 ; 4-byte Folded Reload
	s_waitcnt vmcnt(0)
	global_load_dwordx2 v[92:93], v[0:1], off
	global_load_dwordx2 v[30:31], v[46:47], off
	s_nop 0
	global_load_dwordx2 v[46:47], v[36:37], off
	global_load_dwordx2 v[48:49], v[22:23], off
	;; [unrolled: 1-line block ×3, first 2 shown]
	v_mul_f64 v[0:1], v[28:29], v[114:115]
	v_fma_f64 v[34:35], -v[42:43], v[68:69], s[64:65]
	v_fma_f64 v[36:37], -v[42:43], v[72:73], s[66:67]
	s_waitcnt vmcnt(4)
	v_fmac_f64_e32 v[0:1], v[92:93], v[118:119]
	v_fmac_f64_e32 v[0:1], v[44:45], v[110:111]
	;; [unrolled: 1-line block ×3, first 2 shown]
	s_waitcnt vmcnt(3)
	v_fmac_f64_e32 v[0:1], v[30:31], v[10:11]
	s_waitcnt vmcnt(2)
	v_fmac_f64_e32 v[0:1], v[46:47], v[2:3]
	s_waitcnt vmcnt(1)
	v_fmac_f64_e32 v[0:1], v[48:49], v[32:33]
	v_mul_f64 v[32:33], v[28:29], v[120:121]
	v_fmac_f64_e32 v[32:33], v[92:93], v[124:125]
	v_fmac_f64_e32 v[32:33], v[44:45], v[116:117]
	v_fmac_f64_e32 v[32:33], v[122:123], v[112:113]
	v_fmac_f64_e32 v[32:33], v[30:31], v[82:83]
	v_fmac_f64_e32 v[32:33], v[46:47], v[62:63]
	v_fmac_f64_e32 v[32:33], v[48:49], v[12:13]
	s_waitcnt vmcnt(0)
	v_fmac_f64_e32 v[32:33], v[56:57], v[38:39]
	v_fmac_f64_e32 v[0:1], v[56:57], v[40:41]
	v_mul_f64 v[124:125], v[32:33], v[124:125]
	v_fmac_f64_e32 v[124:125], v[0:1], v[118:119]
	v_mul_f64 v[118:119], v[32:33], v[120:121]
	;; [unrolled: 2-line block ×4, first 2 shown]
	v_mul_f64 v[82:83], v[32:33], v[82:83]
	v_mul_f64 v[112:113], v[32:33], v[62:63]
	;; [unrolled: 1-line block ×4, first 2 shown]
	v_fmac_f64_e32 v[110:111], v[0:1], v[24:25]
	v_fmac_f64_e32 v[82:83], v[0:1], v[10:11]
	;; [unrolled: 1-line block ×5, first 2 shown]
	buffer_load_dword v0, off, s[96:99], 0 offset:40 ; 4-byte Folded Reload
	buffer_load_dword v1, off, s[96:99], 0 offset:44 ; 4-byte Folded Reload
	s_waitcnt vmcnt(0)
	v_fma_f64 v[32:33], -v[42:43], v[0:1], s[52:53]
	buffer_load_dword v0, off, s[96:99], 0 offset:48 ; 4-byte Folded Reload
	buffer_load_dword v1, off, s[96:99], 0 offset:52 ; 4-byte Folded Reload
	s_waitcnt vmcnt(0)
	v_fma_f64 v[22:23], -v[42:43], v[0:1], s[54:55]
	;; [unrolled: 4-line block ×4, first 2 shown]
	buffer_load_dword v0, off, s[96:99], 0 offset:64 ; 4-byte Folded Reload
	buffer_load_dword v1, off, s[96:99], 0 offset:68 ; 4-byte Folded Reload
	v_mul_f64 v[2:3], v[52:53], v[12:13]
	v_fmac_f64_e32 v[2:3], v[54:55], v[10:11]
	s_waitcnt vmcnt(0)
	v_fma_f64 v[16:17], -v[42:43], v[0:1], s[72:73]
	buffer_load_dword v0, off, s[96:99], 0 offset:56 ; 4-byte Folded Reload
	buffer_load_dword v1, off, s[96:99], 0 offset:60 ; 4-byte Folded Reload
	v_fmac_f64_e32 v[2:3], v[58:59], v[16:17]
	s_waitcnt vmcnt(0)
	v_fma_f64 v[68:69], -v[42:43], v[0:1], s[74:75]
	buffer_load_dword v0, off, s[96:99], 0 offset:80 ; 4-byte Folded Reload
	buffer_load_dword v1, off, s[96:99], 0 offset:84 ; 4-byte Folded Reload
	s_waitcnt vmcnt(0)
	v_fma_f64 v[72:73], -v[42:43], v[0:1], s[76:77]
	buffer_load_dword v0, off, s[96:99], 0 offset:72 ; 4-byte Folded Reload
	buffer_load_dword v1, off, s[96:99], 0 offset:76 ; 4-byte Folded Reload
	;; [unrolled: 4-line block ×4, first 2 shown]
	s_waitcnt vmcnt(0)
	v_fma_f64 v[42:43], -v[42:43], v[0:1], s[82:83]
	v_mul_f64 v[0:1], v[52:53], v[22:23]
	v_fmac_f64_e32 v[0:1], v[54:55], v[32:33]
	buffer_load_dword v54, off, s[96:99], 0 offset:120 ; 4-byte Folded Reload
	buffer_load_dword v55, off, s[96:99], 0 offset:124 ; 4-byte Folded Reload
	;; [unrolled: 1-line block ×4, first 2 shown]
	v_fmac_f64_e32 v[0:1], v[58:59], v[80:81]
	s_waitcnt vmcnt(2)
	v_fmac_f64_e32 v[0:1], v[54:55], v[86:87]
	v_fmac_f64_e32 v[2:3], v[54:55], v[68:69]
	;; [unrolled: 1-line block ×6, first 2 shown]
	s_waitcnt vmcnt(0)
	v_fmac_f64_e32 v[0:1], v[52:53], v[34:35]
	v_fmac_f64_e32 v[2:3], v[52:53], v[62:63]
	buffer_load_dword v52, off, s[96:99], 0 offset:104 ; 4-byte Folded Reload
	buffer_load_dword v53, off, s[96:99], 0 offset:108 ; 4-byte Folded Reload
	;; [unrolled: 1-line block ×4, first 2 shown]
	s_waitcnt vmcnt(2)
	v_fmac_f64_e32 v[0:1], v[52:53], v[36:37]
	v_fmac_f64_e32 v[2:3], v[52:53], v[42:43]
	;; [unrolled: 1-line block ×18, first 2 shown]
	v_mul_f64 v[0:1], v[108:109], v[22:23]
	v_mul_f64 v[2:3], v[108:109], v[12:13]
	v_fmac_f64_e32 v[0:1], v[106:107], v[32:33]
	v_fmac_f64_e32 v[2:3], v[106:107], v[10:11]
	;; [unrolled: 1-line block ×10, first 2 shown]
	s_waitcnt vmcnt(0)
	v_fmac_f64_e32 v[0:1], v[38:39], v[34:35]
	v_fmac_f64_e32 v[2:3], v[38:39], v[62:63]
	buffer_load_dword v38, off, s[96:99], 0 offset:96 ; 4-byte Folded Reload
	buffer_load_dword v39, off, s[96:99], 0 offset:100 ; 4-byte Folded Reload
	v_mul_f64 v[52:53], v[26:27], v[90:91]
	v_mul_f64 v[94:95], v[26:27], v[96:97]
	;; [unrolled: 1-line block ×8, first 2 shown]
	s_waitcnt vmcnt(0)
	v_fmac_f64_e32 v[0:1], v[38:39], v[36:37]
	v_fmac_f64_e32 v[2:3], v[38:39], v[42:43]
	v_fmac_f64_e32 v[14:15], v[0:1], v[86:87]
	v_fmac_f64_e32 v[126:127], v[0:1], v[32:33]
	v_fmac_f64_e32 v[20:21], v[0:1], v[22:23]
	v_fmac_f64_e32 v[18:19], v[0:1], v[80:81]
	v_fmac_f64_e32 v[14:15], v[2:3], v[68:69]
	v_fmac_f64_e32 v[8:9], v[0:1], v[50:51]
	v_fmac_f64_e32 v[6:7], v[0:1], v[64:65]
	v_fmac_f64_e32 v[4:5], v[0:1], v[34:35]
	v_fmac_f64_e32 v[74:75], v[0:1], v[36:37]
	v_mul_f64 v[0:1], v[28:29], v[22:23]
	v_mul_f64 v[90:91], v[26:27], v[14:15]
	v_fmac_f64_e32 v[0:1], v[92:93], v[32:33]
	v_mul_f64 v[14:15], v[28:29], v[12:13]
	v_fmac_f64_e32 v[14:15], v[92:93], v[10:11]
	v_fmac_f64_e32 v[0:1], v[44:45], v[80:81]
	;; [unrolled: 1-line block ×29, first 2 shown]
	buffer_load_dword v14, off, s[96:99], 0 ; 4-byte Folded Reload
	buffer_load_dword v15, off, s[96:99], 0 offset:4 ; 4-byte Folded Reload
	v_mov_b32_e32 v1, s25
	v_fmac_f64_e32 v[126:127], v[2:3], v[10:11]
	v_fmac_f64_e32 v[20:21], v[2:3], v[12:13]
	v_mul_f64 v[102:103], v[26:27], v[126:127]
	v_mul_f64 v[104:105], v[26:27], v[20:21]
	v_fmac_f64_e32 v[18:19], v[2:3], v[16:17]
	v_fmac_f64_e32 v[8:9], v[2:3], v[72:73]
	;; [unrolled: 1-line block ×5, first 2 shown]
	v_mul_f64 v[88:89], v[26:27], v[18:19]
	v_mul_f64 v[98:99], v[26:27], v[8:9]
	v_mul_f64 v[100:101], v[26:27], v[6:7]
	v_mul_f64 v[2:3], v[26:27], v[4:5]
	v_mul_f64 v[4:5], v[26:27], v[74:75]
	v_mul_f64 v[10:11], v[26:27], v[124:125]
	v_mul_f64 v[12:13], v[26:27], v[118:119]
	v_mul_f64 v[28:29], v[26:27], v[114:115]
	v_mul_f64 v[30:31], v[26:27], v[110:111]
	v_mul_f64 v[6:7], v[26:27], v[82:83]
	v_mul_f64 v[8:9], v[26:27], v[112:113]
	v_mul_f64 v[48:49], v[26:27], v[116:117]
	v_mul_f64 v[50:51], v[26:27], v[120:121]
	s_waitcnt vmcnt(1)
	v_add_co_u32_e32 v0, vcc, s24, v14
	s_waitcnt vmcnt(0)
	v_addc_co_u32_e32 v1, vcc, v1, v15, vcc
	global_store_dwordx4 v[0:1], v[94:97], off
	global_store_dwordx4 v[0:1], v[58:61], off offset:16
	global_store_dwordx4 v[0:1], v[76:79], off offset:32
	global_store_dwordx4 v[0:1], v[52:55], off offset:48
	v_mov_b32_e32 v1, s27
	v_add_co_u32_e32 v0, vcc, s26, v14
	v_addc_co_u32_e32 v1, vcc, v1, v15, vcc
	global_store_dwordx4 v[0:1], v[102:105], off
	global_store_dwordx4 v[0:1], v[88:91], off offset:16
	global_store_dwordx4 v[0:1], v[98:101], off offset:32
	;; [unrolled: 1-line block ×3, first 2 shown]
	v_mov_b32_e32 v1, s29
	v_add_co_u32_e32 v0, vcc, s28, v14
	v_addc_co_u32_e32 v1, vcc, v1, v15, vcc
	global_store_dwordx4 v[0:1], v[10:13], off
	global_store_dwordx4 v[0:1], v[28:31], off offset:16
	global_store_dwordx4 v[0:1], v[6:9], off offset:32
	;; [unrolled: 1-line block ×3, first 2 shown]
.LBB4_2:
	s_endpgm
	.section	.rodata,"a",@progbits
	.p2align	6, 0x0
	.amdhsa_kernel _Z2fbPKdS0_S0_S0_S0_S0_S0_S0_S0_S0_S0_S0_PKiS0_PdS3_S3_di
		.amdhsa_group_segment_fixed_size 0
		.amdhsa_private_segment_fixed_size 156
		.amdhsa_kernarg_size 408
		.amdhsa_user_sgpr_count 6
		.amdhsa_user_sgpr_private_segment_buffer 1
		.amdhsa_user_sgpr_dispatch_ptr 0
		.amdhsa_user_sgpr_queue_ptr 0
		.amdhsa_user_sgpr_kernarg_segment_ptr 1
		.amdhsa_user_sgpr_dispatch_id 0
		.amdhsa_user_sgpr_flat_scratch_init 0
		.amdhsa_user_sgpr_kernarg_preload_length 0
		.amdhsa_user_sgpr_kernarg_preload_offset 0
		.amdhsa_user_sgpr_private_segment_size 0
		.amdhsa_uses_dynamic_stack 0
		.amdhsa_system_sgpr_private_segment_wavefront_offset 1
		.amdhsa_system_sgpr_workgroup_id_x 1
		.amdhsa_system_sgpr_workgroup_id_y 0
		.amdhsa_system_sgpr_workgroup_id_z 0
		.amdhsa_system_sgpr_workgroup_info 0
		.amdhsa_system_vgpr_workitem_id 0
		.amdhsa_next_free_vgpr 128
		.amdhsa_next_free_sgpr 100
		.amdhsa_accum_offset 128
		.amdhsa_reserve_vcc 1
		.amdhsa_reserve_flat_scratch 0
		.amdhsa_float_round_mode_32 0
		.amdhsa_float_round_mode_16_64 0
		.amdhsa_float_denorm_mode_32 3
		.amdhsa_float_denorm_mode_16_64 3
		.amdhsa_dx10_clamp 1
		.amdhsa_ieee_mode 1
		.amdhsa_fp16_overflow 0
		.amdhsa_tg_split 0
		.amdhsa_exception_fp_ieee_invalid_op 0
		.amdhsa_exception_fp_denorm_src 0
		.amdhsa_exception_fp_ieee_div_zero 0
		.amdhsa_exception_fp_ieee_overflow 0
		.amdhsa_exception_fp_ieee_underflow 0
		.amdhsa_exception_fp_ieee_inexact 0
		.amdhsa_exception_int_div_zero 0
	.end_amdhsa_kernel
	.text
.Lfunc_end4:
	.size	_Z2fbPKdS0_S0_S0_S0_S0_S0_S0_S0_S0_S0_S0_PKiS0_PdS3_S3_di, .Lfunc_end4-_Z2fbPKdS0_S0_S0_S0_S0_S0_S0_S0_S0_S0_S0_PKiS0_PdS3_S3_di
                                        ; -- End function
	.section	.AMDGPU.csdata,"",@progbits
; Kernel info:
; codeLenInByte = 5132
; NumSgprs: 104
; NumVgprs: 128
; NumAgprs: 0
; TotalNumVgprs: 128
; ScratchSize: 156
; MemoryBound: 0
; FloatMode: 240
; IeeeMode: 1
; LDSByteSize: 0 bytes/workgroup (compile time only)
; SGPRBlocks: 12
; VGPRBlocks: 15
; NumSGPRsForWavesPerEU: 104
; NumVGPRsForWavesPerEU: 128
; AccumOffset: 128
; Occupancy: 4
; WaveLimiterHint : 0
; COMPUTE_PGM_RSRC2:SCRATCH_EN: 1
; COMPUTE_PGM_RSRC2:USER_SGPR: 6
; COMPUTE_PGM_RSRC2:TRAP_HANDLER: 0
; COMPUTE_PGM_RSRC2:TGID_X_EN: 1
; COMPUTE_PGM_RSRC2:TGID_Y_EN: 0
; COMPUTE_PGM_RSRC2:TGID_Z_EN: 0
; COMPUTE_PGM_RSRC2:TIDIG_COMP_CNT: 0
; COMPUTE_PGM_RSRC3_GFX90A:ACCUM_OFFSET: 31
; COMPUTE_PGM_RSRC3_GFX90A:TG_SPLIT: 0
	.text
	.protected	_Z19collect_final_forcePKdS0_S0_PdS1_S1_PKiS3_i ; -- Begin function _Z19collect_final_forcePKdS0_S0_PdS1_S1_PKiS3_i
	.globl	_Z19collect_final_forcePKdS0_S0_PdS1_S1_PKiS3_i
	.p2align	8
	.type	_Z19collect_final_forcePKdS0_S0_PdS1_S1_PKiS3_i,@function
_Z19collect_final_forcePKdS0_S0_PdS1_S1_PKiS3_i: ; @_Z19collect_final_forcePKdS0_S0_PdS1_S1_PKiS3_i
; %bb.0:
	s_load_dword s0, s[4:5], 0x54
	s_load_dword s1, s[4:5], 0x40
	s_waitcnt lgkmcnt(0)
	s_and_b32 s0, s0, 0xffff
	s_mul_i32 s6, s6, s0
	v_add_u32_e32 v0, s6, v0
	v_cmp_gt_i32_e32 vcc, s1, v0
	s_and_saveexec_b64 s[0:1], vcc
	s_cbranch_execz .LBB5_6
; %bb.1:
	s_load_dwordx8 s[8:15], s[4:5], 0x18
	v_ashrrev_i32_e32 v1, 31, v0
	v_lshlrev_b64 v[2:3], 2, v[0:1]
	s_mov_b32 s16, 0
	s_waitcnt lgkmcnt(0)
	v_mov_b32_e32 v4, s15
	v_add_co_u32_e32 v2, vcc, s14, v2
	v_addc_co_u32_e32 v3, vcc, v4, v3, vcc
	global_load_dwordx2 v[8:9], v[2:3], off
	v_pk_mov_b32 v[2:3], 0, 0
	v_pk_mov_b32 v[4:5], v[2:3], v[2:3] op_sel:[0,1]
	v_pk_mov_b32 v[6:7], v[2:3], v[2:3] op_sel:[0,1]
	s_waitcnt vmcnt(0)
	v_sub_u32_e32 v10, v9, v8
	v_cmp_lt_i32_e32 vcc, 0, v10
	s_and_saveexec_b64 s[6:7], vcc
	s_cbranch_execz .LBB5_5
; %bb.2:
	s_load_dwordx2 s[18:19], s[4:5], 0x38
	s_load_dwordx4 s[0:3], s[4:5], 0x0
	s_load_dwordx2 s[14:15], s[4:5], 0x10
	v_ashrrev_i32_e32 v9, 31, v8
	v_lshlrev_b64 v[2:3], 2, v[8:9]
	s_waitcnt lgkmcnt(0)
	v_mov_b32_e32 v4, s19
	v_add_co_u32_e32 v8, vcc, s18, v2
	v_addc_co_u32_e32 v9, vcc, v4, v3, vcc
	v_pk_mov_b32 v[2:3], 0, 0
	s_mov_b64 s[4:5], 0
	v_mov_b32_e32 v11, s1
	v_mov_b32_e32 v12, s3
	;; [unrolled: 1-line block ×3, first 2 shown]
	v_pk_mov_b32 v[4:5], v[2:3], v[2:3] op_sel:[0,1]
	v_pk_mov_b32 v[6:7], v[2:3], v[2:3] op_sel:[0,1]
.LBB5_3:                                ; =>This Inner Loop Header: Depth=1
	global_load_dword v14, v[8:9], off
	s_add_i32 s16, s16, 1
	s_waitcnt vmcnt(0)
	v_ashrrev_i32_e32 v15, 31, v14
	v_lshlrev_b64 v[14:15], 3, v[14:15]
	v_add_co_u32_e32 v16, vcc, s0, v14
	v_addc_co_u32_e32 v17, vcc, v11, v15, vcc
	v_add_co_u32_e32 v18, vcc, s2, v14
	v_addc_co_u32_e32 v19, vcc, v12, v15, vcc
	;; [unrolled: 2-line block ×3, first 2 shown]
	global_load_dwordx2 v[20:21], v[16:17], off
	global_load_dwordx2 v[22:23], v[18:19], off
	;; [unrolled: 1-line block ×3, first 2 shown]
	v_add_co_u32_e32 v8, vcc, 4, v8
	v_addc_co_u32_e32 v9, vcc, 0, v9, vcc
	v_cmp_ge_i32_e32 vcc, s16, v10
	s_or_b64 s[4:5], vcc, s[4:5]
	s_waitcnt vmcnt(2)
	v_add_f64 v[6:7], v[6:7], v[20:21]
	s_waitcnt vmcnt(1)
	v_add_f64 v[4:5], v[4:5], v[22:23]
	;; [unrolled: 2-line block ×3, first 2 shown]
	s_andn2_b64 exec, exec, s[4:5]
	s_cbranch_execnz .LBB5_3
; %bb.4:
	s_or_b64 exec, exec, s[4:5]
.LBB5_5:
	s_or_b64 exec, exec, s[6:7]
	v_lshlrev_b64 v[0:1], 3, v[0:1]
	v_mov_b32_e32 v9, s9
	v_add_co_u32_e32 v8, vcc, s8, v0
	v_addc_co_u32_e32 v9, vcc, v9, v1, vcc
	global_store_dwordx2 v[8:9], v[6:7], off
	v_mov_b32_e32 v7, s11
	v_add_co_u32_e32 v6, vcc, s10, v0
	v_addc_co_u32_e32 v7, vcc, v7, v1, vcc
	global_store_dwordx2 v[6:7], v[4:5], off
	;; [unrolled: 4-line block ×3, first 2 shown]
.LBB5_6:
	s_endpgm
	.section	.rodata,"a",@progbits
	.p2align	6, 0x0
	.amdhsa_kernel _Z19collect_final_forcePKdS0_S0_PdS1_S1_PKiS3_i
		.amdhsa_group_segment_fixed_size 0
		.amdhsa_private_segment_fixed_size 0
		.amdhsa_kernarg_size 328
		.amdhsa_user_sgpr_count 6
		.amdhsa_user_sgpr_private_segment_buffer 1
		.amdhsa_user_sgpr_dispatch_ptr 0
		.amdhsa_user_sgpr_queue_ptr 0
		.amdhsa_user_sgpr_kernarg_segment_ptr 1
		.amdhsa_user_sgpr_dispatch_id 0
		.amdhsa_user_sgpr_flat_scratch_init 0
		.amdhsa_user_sgpr_kernarg_preload_length 0
		.amdhsa_user_sgpr_kernarg_preload_offset 0
		.amdhsa_user_sgpr_private_segment_size 0
		.amdhsa_uses_dynamic_stack 0
		.amdhsa_system_sgpr_private_segment_wavefront_offset 0
		.amdhsa_system_sgpr_workgroup_id_x 1
		.amdhsa_system_sgpr_workgroup_id_y 0
		.amdhsa_system_sgpr_workgroup_id_z 0
		.amdhsa_system_sgpr_workgroup_info 0
		.amdhsa_system_vgpr_workitem_id 0
		.amdhsa_next_free_vgpr 26
		.amdhsa_next_free_sgpr 20
		.amdhsa_accum_offset 28
		.amdhsa_reserve_vcc 1
		.amdhsa_reserve_flat_scratch 0
		.amdhsa_float_round_mode_32 0
		.amdhsa_float_round_mode_16_64 0
		.amdhsa_float_denorm_mode_32 3
		.amdhsa_float_denorm_mode_16_64 3
		.amdhsa_dx10_clamp 1
		.amdhsa_ieee_mode 1
		.amdhsa_fp16_overflow 0
		.amdhsa_tg_split 0
		.amdhsa_exception_fp_ieee_invalid_op 0
		.amdhsa_exception_fp_denorm_src 0
		.amdhsa_exception_fp_ieee_div_zero 0
		.amdhsa_exception_fp_ieee_overflow 0
		.amdhsa_exception_fp_ieee_underflow 0
		.amdhsa_exception_fp_ieee_inexact 0
		.amdhsa_exception_int_div_zero 0
	.end_amdhsa_kernel
	.text
.Lfunc_end5:
	.size	_Z19collect_final_forcePKdS0_S0_PdS1_S1_PKiS3_i, .Lfunc_end5-_Z19collect_final_forcePKdS0_S0_PdS1_S1_PKiS3_i
                                        ; -- End function
	.section	.AMDGPU.csdata,"",@progbits
; Kernel info:
; codeLenInByte = 448
; NumSgprs: 24
; NumVgprs: 26
; NumAgprs: 0
; TotalNumVgprs: 26
; ScratchSize: 0
; MemoryBound: 0
; FloatMode: 240
; IeeeMode: 1
; LDSByteSize: 0 bytes/workgroup (compile time only)
; SGPRBlocks: 2
; VGPRBlocks: 3
; NumSGPRsForWavesPerEU: 24
; NumVGPRsForWavesPerEU: 26
; AccumOffset: 28
; Occupancy: 8
; WaveLimiterHint : 1
; COMPUTE_PGM_RSRC2:SCRATCH_EN: 0
; COMPUTE_PGM_RSRC2:USER_SGPR: 6
; COMPUTE_PGM_RSRC2:TRAP_HANDLER: 0
; COMPUTE_PGM_RSRC2:TGID_X_EN: 1
; COMPUTE_PGM_RSRC2:TGID_Y_EN: 0
; COMPUTE_PGM_RSRC2:TGID_Z_EN: 0
; COMPUTE_PGM_RSRC2:TIDIG_COMP_CNT: 0
; COMPUTE_PGM_RSRC3_GFX90A:ACCUM_OFFSET: 6
; COMPUTE_PGM_RSRC3_GFX90A:TG_SPLIT: 0
	.text
	.protected	_Z19accelerationForNodePKdS0_S0_S0_PdS1_S1_i ; -- Begin function _Z19accelerationForNodePKdS0_S0_S0_PdS1_S1_i
	.globl	_Z19accelerationForNodePKdS0_S0_S0_PdS1_S1_i
	.p2align	8
	.type	_Z19accelerationForNodePKdS0_S0_S0_PdS1_S1_i,@function
_Z19accelerationForNodePKdS0_S0_S0_PdS1_S1_i: ; @_Z19accelerationForNodePKdS0_S0_S0_PdS1_S1_i
; %bb.0:
	s_load_dword s0, s[4:5], 0x4c
	s_load_dword s1, s[4:5], 0x38
	s_waitcnt lgkmcnt(0)
	s_and_b32 s0, s0, 0xffff
	s_mul_i32 s6, s6, s0
	v_add_u32_e32 v0, s6, v0
	v_cmp_gt_i32_e32 vcc, s1, v0
	s_and_saveexec_b64 s[0:1], vcc
	s_cbranch_execz .LBB6_2
; %bb.1:
	s_load_dwordx8 s[8:15], s[4:5], 0x0
	v_ashrrev_i32_e32 v1, 31, v0
	v_lshlrev_b64 v[0:1], 3, v[0:1]
	s_waitcnt lgkmcnt(0)
	v_mov_b32_e32 v3, s15
	v_add_co_u32_e32 v2, vcc, s14, v0
	v_addc_co_u32_e32 v3, vcc, v3, v1, vcc
	global_load_dwordx2 v[2:3], v[2:3], off
	v_mov_b32_e32 v5, s9
	v_add_co_u32_e32 v4, vcc, s8, v0
	v_addc_co_u32_e32 v5, vcc, v5, v1, vcc
	v_mov_b32_e32 v7, s11
	v_add_co_u32_e32 v6, vcc, s10, v0
	v_addc_co_u32_e32 v7, vcc, v7, v1, vcc
	;; [unrolled: 3-line block ×3, first 2 shown]
	global_load_dwordx2 v[10:11], v[4:5], off
	global_load_dwordx2 v[12:13], v[6:7], off
	;; [unrolled: 1-line block ×3, first 2 shown]
	s_load_dwordx4 s[0:3], s[4:5], 0x20
	s_load_dwordx2 s[6:7], s[4:5], 0x30
	s_waitcnt lgkmcnt(0)
	v_mov_b32_e32 v5, s1
	v_add_co_u32_e32 v4, vcc, s0, v0
	v_addc_co_u32_e32 v5, vcc, v5, v1, vcc
	v_mov_b32_e32 v7, s3
	v_add_co_u32_e32 v6, vcc, s2, v0
	v_addc_co_u32_e32 v7, vcc, v7, v1, vcc
	;; [unrolled: 3-line block ×3, first 2 shown]
	s_waitcnt vmcnt(3)
	v_div_scale_f64 v[8:9], s[0:1], v[2:3], v[2:3], 1.0
	v_rcp_f64_e32 v[16:17], v[8:9]
	v_div_scale_f64 v[18:19], vcc, 1.0, v[2:3], 1.0
	v_fma_f64 v[20:21], -v[8:9], v[16:17], 1.0
	v_fmac_f64_e32 v[16:17], v[16:17], v[20:21]
	v_fma_f64 v[20:21], -v[8:9], v[16:17], 1.0
	v_fmac_f64_e32 v[16:17], v[16:17], v[20:21]
	v_mul_f64 v[20:21], v[18:19], v[16:17]
	v_fma_f64 v[8:9], -v[8:9], v[20:21], v[18:19]
	v_div_fmas_f64 v[8:9], v[8:9], v[16:17], v[20:21]
	v_div_fixup_f64 v[2:3], v[8:9], v[2:3], 1.0
	s_waitcnt vmcnt(2)
	v_mul_f64 v[8:9], v[10:11], v[2:3]
	s_waitcnt vmcnt(1)
	v_mul_f64 v[10:11], v[2:3], v[12:13]
	;; [unrolled: 2-line block ×3, first 2 shown]
	global_store_dwordx2 v[4:5], v[8:9], off
	global_store_dwordx2 v[6:7], v[10:11], off
	;; [unrolled: 1-line block ×3, first 2 shown]
.LBB6_2:
	s_endpgm
	.section	.rodata,"a",@progbits
	.p2align	6, 0x0
	.amdhsa_kernel _Z19accelerationForNodePKdS0_S0_S0_PdS1_S1_i
		.amdhsa_group_segment_fixed_size 0
		.amdhsa_private_segment_fixed_size 0
		.amdhsa_kernarg_size 320
		.amdhsa_user_sgpr_count 6
		.amdhsa_user_sgpr_private_segment_buffer 1
		.amdhsa_user_sgpr_dispatch_ptr 0
		.amdhsa_user_sgpr_queue_ptr 0
		.amdhsa_user_sgpr_kernarg_segment_ptr 1
		.amdhsa_user_sgpr_dispatch_id 0
		.amdhsa_user_sgpr_flat_scratch_init 0
		.amdhsa_user_sgpr_kernarg_preload_length 0
		.amdhsa_user_sgpr_kernarg_preload_offset 0
		.amdhsa_user_sgpr_private_segment_size 0
		.amdhsa_uses_dynamic_stack 0
		.amdhsa_system_sgpr_private_segment_wavefront_offset 0
		.amdhsa_system_sgpr_workgroup_id_x 1
		.amdhsa_system_sgpr_workgroup_id_y 0
		.amdhsa_system_sgpr_workgroup_id_z 0
		.amdhsa_system_sgpr_workgroup_info 0
		.amdhsa_system_vgpr_workitem_id 0
		.amdhsa_next_free_vgpr 22
		.amdhsa_next_free_sgpr 16
		.amdhsa_accum_offset 24
		.amdhsa_reserve_vcc 1
		.amdhsa_reserve_flat_scratch 0
		.amdhsa_float_round_mode_32 0
		.amdhsa_float_round_mode_16_64 0
		.amdhsa_float_denorm_mode_32 3
		.amdhsa_float_denorm_mode_16_64 3
		.amdhsa_dx10_clamp 1
		.amdhsa_ieee_mode 1
		.amdhsa_fp16_overflow 0
		.amdhsa_tg_split 0
		.amdhsa_exception_fp_ieee_invalid_op 0
		.amdhsa_exception_fp_denorm_src 0
		.amdhsa_exception_fp_ieee_div_zero 0
		.amdhsa_exception_fp_ieee_overflow 0
		.amdhsa_exception_fp_ieee_underflow 0
		.amdhsa_exception_fp_ieee_inexact 0
		.amdhsa_exception_int_div_zero 0
	.end_amdhsa_kernel
	.text
.Lfunc_end6:
	.size	_Z19accelerationForNodePKdS0_S0_S0_PdS1_S1_i, .Lfunc_end6-_Z19accelerationForNodePKdS0_S0_S0_PdS1_S1_i
                                        ; -- End function
	.section	.AMDGPU.csdata,"",@progbits
; Kernel info:
; codeLenInByte = 352
; NumSgprs: 20
; NumVgprs: 22
; NumAgprs: 0
; TotalNumVgprs: 22
; ScratchSize: 0
; MemoryBound: 0
; FloatMode: 240
; IeeeMode: 1
; LDSByteSize: 0 bytes/workgroup (compile time only)
; SGPRBlocks: 2
; VGPRBlocks: 2
; NumSGPRsForWavesPerEU: 20
; NumVGPRsForWavesPerEU: 22
; AccumOffset: 24
; Occupancy: 8
; WaveLimiterHint : 0
; COMPUTE_PGM_RSRC2:SCRATCH_EN: 0
; COMPUTE_PGM_RSRC2:USER_SGPR: 6
; COMPUTE_PGM_RSRC2:TRAP_HANDLER: 0
; COMPUTE_PGM_RSRC2:TGID_X_EN: 1
; COMPUTE_PGM_RSRC2:TGID_Y_EN: 0
; COMPUTE_PGM_RSRC2:TGID_Z_EN: 0
; COMPUTE_PGM_RSRC2:TIDIG_COMP_CNT: 0
; COMPUTE_PGM_RSRC3_GFX90A:ACCUM_OFFSET: 5
; COMPUTE_PGM_RSRC3_GFX90A:TG_SPLIT: 0
	.text
	.protected	_Z43applyAccelerationBoundaryConditionsForNodesPKiS0_S0_PdS1_S1_iiii ; -- Begin function _Z43applyAccelerationBoundaryConditionsForNodesPKiS0_S0_PdS1_S1_iiii
	.globl	_Z43applyAccelerationBoundaryConditionsForNodesPKiS0_S0_PdS1_S1_iiii
	.p2align	8
	.type	_Z43applyAccelerationBoundaryConditionsForNodesPKiS0_S0_PdS1_S1_iiii,@function
_Z43applyAccelerationBoundaryConditionsForNodesPKiS0_S0_PdS1_S1_iiii: ; @_Z43applyAccelerationBoundaryConditionsForNodesPKiS0_S0_PdS1_S1_iiii
; %bb.0:
	s_load_dword s7, s[4:5], 0x4c
	s_load_dwordx4 s[0:3], s[4:5], 0x30
	s_waitcnt lgkmcnt(0)
	s_and_b32 s7, s7, 0xffff
	s_mul_i32 s6, s6, s7
	v_add_u32_e32 v0, s6, v0
	v_cmp_gt_i32_e32 vcc, s3, v0
	s_and_saveexec_b64 s[6:7], vcc
	s_cbranch_execz .LBB7_4
; %bb.1:
	s_cmp_lg_u32 s0, 0
	s_cbranch_scc0 .LBB7_5
; %bb.2:
	s_cmp_lg_u32 s1, 0
	s_cbranch_scc0 .LBB7_6
.LBB7_3:
	s_cmp_lg_u32 s2, 0
	s_cbranch_scc0 .LBB7_7
.LBB7_4:
	s_endpgm
.LBB7_5:
	s_load_dwordx2 s[6:7], s[4:5], 0x0
	s_load_dwordx2 s[8:9], s[4:5], 0x18
	v_ashrrev_i32_e32 v1, 31, v0
	v_lshlrev_b64 v[2:3], 2, v[0:1]
	v_mov_b32_e32 v4, 0
	s_waitcnt lgkmcnt(0)
	v_mov_b32_e32 v1, s7
	v_add_co_u32_e32 v2, vcc, s6, v2
	v_addc_co_u32_e32 v3, vcc, v1, v3, vcc
	global_load_dword v2, v[2:3], off
	v_mov_b32_e32 v1, s9
	v_mov_b32_e32 v5, v4
	s_waitcnt vmcnt(0)
	v_ashrrev_i32_e32 v3, 31, v2
	v_lshlrev_b64 v[2:3], 3, v[2:3]
	v_add_co_u32_e32 v2, vcc, s8, v2
	v_addc_co_u32_e32 v3, vcc, v1, v3, vcc
	global_store_dwordx2 v[2:3], v[4:5], off
	s_cmp_lg_u32 s1, 0
	s_cbranch_scc1 .LBB7_3
.LBB7_6:
	s_load_dwordx2 s[0:1], s[4:5], 0x8
	s_load_dwordx2 s[6:7], s[4:5], 0x20
	v_ashrrev_i32_e32 v1, 31, v0
	v_lshlrev_b64 v[2:3], 2, v[0:1]
	v_mov_b32_e32 v4, 0
	s_waitcnt lgkmcnt(0)
	v_mov_b32_e32 v1, s1
	v_add_co_u32_e32 v2, vcc, s0, v2
	v_addc_co_u32_e32 v3, vcc, v1, v3, vcc
	global_load_dword v2, v[2:3], off
	v_mov_b32_e32 v1, s7
	v_mov_b32_e32 v5, v4
	s_waitcnt vmcnt(0)
	v_ashrrev_i32_e32 v3, 31, v2
	v_lshlrev_b64 v[2:3], 3, v[2:3]
	v_add_co_u32_e32 v2, vcc, s6, v2
	v_addc_co_u32_e32 v3, vcc, v1, v3, vcc
	global_store_dwordx2 v[2:3], v[4:5], off
	s_cmp_lg_u32 s2, 0
	s_cbranch_scc1 .LBB7_4
.LBB7_7:
	s_load_dwordx2 s[0:1], s[4:5], 0x10
	s_load_dwordx2 s[2:3], s[4:5], 0x28
	v_ashrrev_i32_e32 v1, 31, v0
	v_lshlrev_b64 v[0:1], 2, v[0:1]
	s_waitcnt lgkmcnt(0)
	v_mov_b32_e32 v2, s1
	v_add_co_u32_e32 v0, vcc, s0, v0
	v_addc_co_u32_e32 v1, vcc, v2, v1, vcc
	global_load_dword v0, v[0:1], off
	v_mov_b32_e32 v2, 0
	v_mov_b32_e32 v3, s3
	s_waitcnt vmcnt(0)
	v_ashrrev_i32_e32 v1, 31, v0
	v_lshlrev_b64 v[0:1], 3, v[0:1]
	v_add_co_u32_e32 v0, vcc, s2, v0
	v_addc_co_u32_e32 v1, vcc, v3, v1, vcc
	v_mov_b32_e32 v3, v2
	global_store_dwordx2 v[0:1], v[2:3], off
	s_endpgm
	.section	.rodata,"a",@progbits
	.p2align	6, 0x0
	.amdhsa_kernel _Z43applyAccelerationBoundaryConditionsForNodesPKiS0_S0_PdS1_S1_iiii
		.amdhsa_group_segment_fixed_size 0
		.amdhsa_private_segment_fixed_size 0
		.amdhsa_kernarg_size 320
		.amdhsa_user_sgpr_count 6
		.amdhsa_user_sgpr_private_segment_buffer 1
		.amdhsa_user_sgpr_dispatch_ptr 0
		.amdhsa_user_sgpr_queue_ptr 0
		.amdhsa_user_sgpr_kernarg_segment_ptr 1
		.amdhsa_user_sgpr_dispatch_id 0
		.amdhsa_user_sgpr_flat_scratch_init 0
		.amdhsa_user_sgpr_kernarg_preload_length 0
		.amdhsa_user_sgpr_kernarg_preload_offset 0
		.amdhsa_user_sgpr_private_segment_size 0
		.amdhsa_uses_dynamic_stack 0
		.amdhsa_system_sgpr_private_segment_wavefront_offset 0
		.amdhsa_system_sgpr_workgroup_id_x 1
		.amdhsa_system_sgpr_workgroup_id_y 0
		.amdhsa_system_sgpr_workgroup_id_z 0
		.amdhsa_system_sgpr_workgroup_info 0
		.amdhsa_system_vgpr_workitem_id 0
		.amdhsa_next_free_vgpr 6
		.amdhsa_next_free_sgpr 10
		.amdhsa_accum_offset 8
		.amdhsa_reserve_vcc 1
		.amdhsa_reserve_flat_scratch 0
		.amdhsa_float_round_mode_32 0
		.amdhsa_float_round_mode_16_64 0
		.amdhsa_float_denorm_mode_32 3
		.amdhsa_float_denorm_mode_16_64 3
		.amdhsa_dx10_clamp 1
		.amdhsa_ieee_mode 1
		.amdhsa_fp16_overflow 0
		.amdhsa_tg_split 0
		.amdhsa_exception_fp_ieee_invalid_op 0
		.amdhsa_exception_fp_denorm_src 0
		.amdhsa_exception_fp_ieee_div_zero 0
		.amdhsa_exception_fp_ieee_overflow 0
		.amdhsa_exception_fp_ieee_underflow 0
		.amdhsa_exception_fp_ieee_inexact 0
		.amdhsa_exception_int_div_zero 0
	.end_amdhsa_kernel
	.text
.Lfunc_end7:
	.size	_Z43applyAccelerationBoundaryConditionsForNodesPKiS0_S0_PdS1_S1_iiii, .Lfunc_end7-_Z43applyAccelerationBoundaryConditionsForNodesPKiS0_S0_PdS1_S1_iiii
                                        ; -- End function
	.section	.AMDGPU.csdata,"",@progbits
; Kernel info:
; codeLenInByte = 384
; NumSgprs: 14
; NumVgprs: 6
; NumAgprs: 0
; TotalNumVgprs: 6
; ScratchSize: 0
; MemoryBound: 0
; FloatMode: 240
; IeeeMode: 1
; LDSByteSize: 0 bytes/workgroup (compile time only)
; SGPRBlocks: 1
; VGPRBlocks: 0
; NumSGPRsForWavesPerEU: 14
; NumVGPRsForWavesPerEU: 6
; AccumOffset: 8
; Occupancy: 8
; WaveLimiterHint : 1
; COMPUTE_PGM_RSRC2:SCRATCH_EN: 0
; COMPUTE_PGM_RSRC2:USER_SGPR: 6
; COMPUTE_PGM_RSRC2:TRAP_HANDLER: 0
; COMPUTE_PGM_RSRC2:TGID_X_EN: 1
; COMPUTE_PGM_RSRC2:TGID_Y_EN: 0
; COMPUTE_PGM_RSRC2:TGID_Z_EN: 0
; COMPUTE_PGM_RSRC2:TIDIG_COMP_CNT: 0
; COMPUTE_PGM_RSRC3_GFX90A:ACCUM_OFFSET: 1
; COMPUTE_PGM_RSRC3_GFX90A:TG_SPLIT: 0
	.text
	.protected	_Z20calcVelocityForNodesPdS_S_PKdS1_S1_ddi ; -- Begin function _Z20calcVelocityForNodesPdS_S_PKdS1_S1_ddi
	.globl	_Z20calcVelocityForNodesPdS_S_PKdS1_S1_ddi
	.p2align	8
	.type	_Z20calcVelocityForNodesPdS_S_PKdS1_S1_ddi,@function
_Z20calcVelocityForNodesPdS_S_PKdS1_S1_ddi: ; @_Z20calcVelocityForNodesPdS_S_PKdS1_S1_ddi
; %bb.0:
	s_load_dword s0, s[4:5], 0x54
	s_load_dword s1, s[4:5], 0x40
	s_waitcnt lgkmcnt(0)
	s_and_b32 s0, s0, 0xffff
	s_mul_i32 s6, s6, s0
	v_add_u32_e32 v0, s6, v0
	v_cmp_gt_i32_e32 vcc, s1, v0
	s_and_saveexec_b64 s[0:1], vcc
	s_cbranch_execz .LBB8_2
; %bb.1:
	s_load_dwordx8 s[16:23], s[4:5], 0x0
	s_load_dwordx8 s[8:15], s[4:5], 0x20
	v_ashrrev_i32_e32 v1, 31, v0
	v_lshlrev_b64 v[0:1], 3, v[0:1]
	s_waitcnt lgkmcnt(0)
	v_mov_b32_e32 v3, s17
	v_add_co_u32_e32 v2, vcc, s16, v0
	v_addc_co_u32_e32 v3, vcc, v3, v1, vcc
	v_mov_b32_e32 v7, s23
	v_add_co_u32_e32 v6, vcc, s22, v0
	v_addc_co_u32_e32 v7, vcc, v7, v1, vcc
	;; [unrolled: 3-line block ×5, first 2 shown]
	v_mov_b32_e32 v18, s11
	v_add_co_u32_e32 v0, vcc, s10, v0
	global_load_dwordx2 v[4:5], v[2:3], off
	v_addc_co_u32_e32 v1, vcc, v18, v1, vcc
	global_load_dwordx2 v[6:7], v[6:7], off
	s_waitcnt vmcnt(0)
	v_fmac_f64_e32 v[4:5], s[12:13], v[6:7]
	global_load_dwordx2 v[10:11], v[8:9], off
	global_load_dwordx2 v[16:17], v[14:15], off
	v_cmp_nlt_f64_e64 vcc, |v[4:5]|, s[14:15]
	global_load_dwordx2 v[12:13], v[12:13], off
	s_waitcnt vmcnt(0)
	v_fmac_f64_e32 v[10:11], s[12:13], v[12:13]
	global_load_dwordx2 v[0:1], v[0:1], off
	v_cmp_nlt_f64_e64 s[0:1], |v[10:11]|, s[14:15]
	s_waitcnt vmcnt(0)
	v_fmac_f64_e32 v[16:17], s[12:13], v[0:1]
	v_cndmask_b32_e32 v1, 0, v5, vcc
	v_cmp_nlt_f64_e64 s[2:3], |v[16:17]|, s[14:15]
	v_cndmask_b32_e32 v0, 0, v4, vcc
	v_cndmask_b32_e64 v5, 0, v11, s[0:1]
	v_cndmask_b32_e64 v7, 0, v17, s[2:3]
	;; [unrolled: 1-line block ×4, first 2 shown]
	global_store_dwordx2 v[2:3], v[0:1], off
	global_store_dwordx2 v[8:9], v[4:5], off
	;; [unrolled: 1-line block ×3, first 2 shown]
.LBB8_2:
	s_endpgm
	.section	.rodata,"a",@progbits
	.p2align	6, 0x0
	.amdhsa_kernel _Z20calcVelocityForNodesPdS_S_PKdS1_S1_ddi
		.amdhsa_group_segment_fixed_size 0
		.amdhsa_private_segment_fixed_size 0
		.amdhsa_kernarg_size 328
		.amdhsa_user_sgpr_count 6
		.amdhsa_user_sgpr_private_segment_buffer 1
		.amdhsa_user_sgpr_dispatch_ptr 0
		.amdhsa_user_sgpr_queue_ptr 0
		.amdhsa_user_sgpr_kernarg_segment_ptr 1
		.amdhsa_user_sgpr_dispatch_id 0
		.amdhsa_user_sgpr_flat_scratch_init 0
		.amdhsa_user_sgpr_kernarg_preload_length 0
		.amdhsa_user_sgpr_kernarg_preload_offset 0
		.amdhsa_user_sgpr_private_segment_size 0
		.amdhsa_uses_dynamic_stack 0
		.amdhsa_system_sgpr_private_segment_wavefront_offset 0
		.amdhsa_system_sgpr_workgroup_id_x 1
		.amdhsa_system_sgpr_workgroup_id_y 0
		.amdhsa_system_sgpr_workgroup_id_z 0
		.amdhsa_system_sgpr_workgroup_info 0
		.amdhsa_system_vgpr_workitem_id 0
		.amdhsa_next_free_vgpr 19
		.amdhsa_next_free_sgpr 24
		.amdhsa_accum_offset 20
		.amdhsa_reserve_vcc 1
		.amdhsa_reserve_flat_scratch 0
		.amdhsa_float_round_mode_32 0
		.amdhsa_float_round_mode_16_64 0
		.amdhsa_float_denorm_mode_32 3
		.amdhsa_float_denorm_mode_16_64 3
		.amdhsa_dx10_clamp 1
		.amdhsa_ieee_mode 1
		.amdhsa_fp16_overflow 0
		.amdhsa_tg_split 0
		.amdhsa_exception_fp_ieee_invalid_op 0
		.amdhsa_exception_fp_denorm_src 0
		.amdhsa_exception_fp_ieee_div_zero 0
		.amdhsa_exception_fp_ieee_overflow 0
		.amdhsa_exception_fp_ieee_underflow 0
		.amdhsa_exception_fp_ieee_inexact 0
		.amdhsa_exception_int_div_zero 0
	.end_amdhsa_kernel
	.text
.Lfunc_end8:
	.size	_Z20calcVelocityForNodesPdS_S_PKdS1_S1_ddi, .Lfunc_end8-_Z20calcVelocityForNodesPdS_S_PKdS1_S1_ddi
                                        ; -- End function
	.section	.AMDGPU.csdata,"",@progbits
; Kernel info:
; codeLenInByte = 316
; NumSgprs: 28
; NumVgprs: 19
; NumAgprs: 0
; TotalNumVgprs: 19
; ScratchSize: 0
; MemoryBound: 0
; FloatMode: 240
; IeeeMode: 1
; LDSByteSize: 0 bytes/workgroup (compile time only)
; SGPRBlocks: 3
; VGPRBlocks: 2
; NumSGPRsForWavesPerEU: 28
; NumVGPRsForWavesPerEU: 19
; AccumOffset: 20
; Occupancy: 8
; WaveLimiterHint : 0
; COMPUTE_PGM_RSRC2:SCRATCH_EN: 0
; COMPUTE_PGM_RSRC2:USER_SGPR: 6
; COMPUTE_PGM_RSRC2:TRAP_HANDLER: 0
; COMPUTE_PGM_RSRC2:TGID_X_EN: 1
; COMPUTE_PGM_RSRC2:TGID_Y_EN: 0
; COMPUTE_PGM_RSRC2:TGID_Z_EN: 0
; COMPUTE_PGM_RSRC2:TIDIG_COMP_CNT: 0
; COMPUTE_PGM_RSRC3_GFX90A:ACCUM_OFFSET: 4
; COMPUTE_PGM_RSRC3_GFX90A:TG_SPLIT: 0
	.text
	.protected	_Z20calcPositionForNodesPdS_S_PKdS1_S1_di ; -- Begin function _Z20calcPositionForNodesPdS_S_PKdS1_S1_di
	.globl	_Z20calcPositionForNodesPdS_S_PKdS1_S1_di
	.p2align	8
	.type	_Z20calcPositionForNodesPdS_S_PKdS1_S1_di,@function
_Z20calcPositionForNodesPdS_S_PKdS1_S1_di: ; @_Z20calcPositionForNodesPdS_S_PKdS1_S1_di
; %bb.0:
	s_load_dword s0, s[4:5], 0x4c
	s_load_dword s1, s[4:5], 0x38
	s_waitcnt lgkmcnt(0)
	s_and_b32 s0, s0, 0xffff
	s_mul_i32 s6, s6, s0
	v_add_u32_e32 v0, s6, v0
	v_cmp_gt_i32_e32 vcc, s1, v0
	s_and_saveexec_b64 s[0:1], vcc
	s_cbranch_execz .LBB9_2
; %bb.1:
	s_load_dwordx8 s[8:15], s[4:5], 0x0
	s_load_dwordx4 s[0:3], s[4:5], 0x20
	s_load_dwordx2 s[6:7], s[4:5], 0x30
	v_ashrrev_i32_e32 v1, 31, v0
	v_lshlrev_b64 v[0:1], 3, v[0:1]
	s_waitcnt lgkmcnt(0)
	v_mov_b32_e32 v3, s15
	v_add_co_u32_e32 v2, vcc, s14, v0
	v_addc_co_u32_e32 v3, vcc, v3, v1, vcc
	v_mov_b32_e32 v5, s9
	v_add_co_u32_e32 v4, vcc, s8, v0
	v_addc_co_u32_e32 v5, vcc, v5, v1, vcc
	;; [unrolled: 3-line block ×5, first 2 shown]
	v_mov_b32_e32 v16, s13
	v_add_co_u32_e32 v0, vcc, s12, v0
	global_load_dwordx2 v[2:3], v[2:3], off
	v_addc_co_u32_e32 v1, vcc, v16, v1, vcc
	global_load_dwordx2 v[6:7], v[4:5], off
	global_load_dwordx2 v[12:13], v[10:11], off
	;; [unrolled: 1-line block ×3, first 2 shown]
	s_waitcnt vmcnt(2)
	v_fmac_f64_e32 v[6:7], s[6:7], v[2:3]
	global_load_dwordx2 v[8:9], v[8:9], off
	s_waitcnt vmcnt(0)
	v_fmac_f64_e32 v[12:13], s[6:7], v[8:9]
	global_load_dwordx2 v[14:15], v[14:15], off
	s_waitcnt vmcnt(0)
	v_fmac_f64_e32 v[16:17], s[6:7], v[14:15]
	global_store_dwordx2 v[4:5], v[6:7], off
	global_store_dwordx2 v[10:11], v[12:13], off
	;; [unrolled: 1-line block ×3, first 2 shown]
.LBB9_2:
	s_endpgm
	.section	.rodata,"a",@progbits
	.p2align	6, 0x0
	.amdhsa_kernel _Z20calcPositionForNodesPdS_S_PKdS1_S1_di
		.amdhsa_group_segment_fixed_size 0
		.amdhsa_private_segment_fixed_size 0
		.amdhsa_kernarg_size 320
		.amdhsa_user_sgpr_count 6
		.amdhsa_user_sgpr_private_segment_buffer 1
		.amdhsa_user_sgpr_dispatch_ptr 0
		.amdhsa_user_sgpr_queue_ptr 0
		.amdhsa_user_sgpr_kernarg_segment_ptr 1
		.amdhsa_user_sgpr_dispatch_id 0
		.amdhsa_user_sgpr_flat_scratch_init 0
		.amdhsa_user_sgpr_kernarg_preload_length 0
		.amdhsa_user_sgpr_kernarg_preload_offset 0
		.amdhsa_user_sgpr_private_segment_size 0
		.amdhsa_uses_dynamic_stack 0
		.amdhsa_system_sgpr_private_segment_wavefront_offset 0
		.amdhsa_system_sgpr_workgroup_id_x 1
		.amdhsa_system_sgpr_workgroup_id_y 0
		.amdhsa_system_sgpr_workgroup_id_z 0
		.amdhsa_system_sgpr_workgroup_info 0
		.amdhsa_system_vgpr_workitem_id 0
		.amdhsa_next_free_vgpr 18
		.amdhsa_next_free_sgpr 16
		.amdhsa_accum_offset 20
		.amdhsa_reserve_vcc 1
		.amdhsa_reserve_flat_scratch 0
		.amdhsa_float_round_mode_32 0
		.amdhsa_float_round_mode_16_64 0
		.amdhsa_float_denorm_mode_32 3
		.amdhsa_float_denorm_mode_16_64 3
		.amdhsa_dx10_clamp 1
		.amdhsa_ieee_mode 1
		.amdhsa_fp16_overflow 0
		.amdhsa_tg_split 0
		.amdhsa_exception_fp_ieee_invalid_op 0
		.amdhsa_exception_fp_denorm_src 0
		.amdhsa_exception_fp_ieee_div_zero 0
		.amdhsa_exception_fp_ieee_overflow 0
		.amdhsa_exception_fp_ieee_underflow 0
		.amdhsa_exception_fp_ieee_inexact 0
		.amdhsa_exception_int_div_zero 0
	.end_amdhsa_kernel
	.text
.Lfunc_end9:
	.size	_Z20calcPositionForNodesPdS_S_PKdS1_S1_di, .Lfunc_end9-_Z20calcPositionForNodesPdS_S_PKdS1_S1_di
                                        ; -- End function
	.section	.AMDGPU.csdata,"",@progbits
; Kernel info:
; codeLenInByte = 260
; NumSgprs: 20
; NumVgprs: 18
; NumAgprs: 0
; TotalNumVgprs: 18
; ScratchSize: 0
; MemoryBound: 0
; FloatMode: 240
; IeeeMode: 1
; LDSByteSize: 0 bytes/workgroup (compile time only)
; SGPRBlocks: 2
; VGPRBlocks: 2
; NumSGPRsForWavesPerEU: 20
; NumVGPRsForWavesPerEU: 18
; AccumOffset: 20
; Occupancy: 8
; WaveLimiterHint : 0
; COMPUTE_PGM_RSRC2:SCRATCH_EN: 0
; COMPUTE_PGM_RSRC2:USER_SGPR: 6
; COMPUTE_PGM_RSRC2:TRAP_HANDLER: 0
; COMPUTE_PGM_RSRC2:TGID_X_EN: 1
; COMPUTE_PGM_RSRC2:TGID_Y_EN: 0
; COMPUTE_PGM_RSRC2:TGID_Z_EN: 0
; COMPUTE_PGM_RSRC2:TIDIG_COMP_CNT: 0
; COMPUTE_PGM_RSRC3_GFX90A:ACCUM_OFFSET: 4
; COMPUTE_PGM_RSRC3_GFX90A:TG_SPLIT: 0
	.text
	.protected	_Z22calcKinematicsForElemsPKdS0_S0_S0_S0_S0_PKiS0_S0_PdS3_S3_S3_S3_S3_di ; -- Begin function _Z22calcKinematicsForElemsPKdS0_S0_S0_S0_S0_PKiS0_S0_PdS3_S3_S3_S3_S3_di
	.globl	_Z22calcKinematicsForElemsPKdS0_S0_S0_S0_S0_PKiS0_S0_PdS3_S3_S3_S3_S3_di
	.p2align	8
	.type	_Z22calcKinematicsForElemsPKdS0_S0_S0_S0_S0_PKiS0_S0_PdS3_S3_S3_S3_S3_di,@function
_Z22calcKinematicsForElemsPKdS0_S0_S0_S0_S0_PKiS0_S0_PdS3_S3_S3_S3_S3_di: ; @_Z22calcKinematicsForElemsPKdS0_S0_S0_S0_S0_PKiS0_S0_PdS3_S3_S3_S3_S3_di
; %bb.0:
	s_load_dword s0, s[4:5], 0x94
	s_load_dword s1, s[4:5], 0x80
	s_waitcnt lgkmcnt(0)
	s_and_b32 s0, s0, 0xffff
	s_mul_i32 s6, s6, s0
	v_add_u32_e32 v58, s6, v0
	v_cmp_gt_i32_e32 vcc, s1, v58
	s_and_saveexec_b64 s[0:1], vcc
	s_cbranch_execz .LBB10_2
; %bb.1:
	s_load_dwordx8 s[16:23], s[4:5], 0x20
	v_lshlrev_b32_e32 v0, 3, v58
	v_ashrrev_i32_e32 v1, 31, v0
	v_lshlrev_b64 v[0:1], 2, v[0:1]
	s_load_dwordx8 s[8:15], s[4:5], 0x0
	s_waitcnt lgkmcnt(0)
	v_mov_b32_e32 v2, s21
	v_add_co_u32_e32 v12, vcc, s20, v0
	v_addc_co_u32_e32 v13, vcc, v2, v1, vcc
	global_load_dwordx2 v[14:15], v[12:13], off
	global_load_dwordx4 v[4:7], v[12:13], off
	global_load_dwordx4 v[0:3], v[12:13], off offset:16
	global_load_dwordx4 v[8:11], v[12:13], off offset:8
	v_mov_b32_e32 v54, s15
	v_mov_b32_e32 v48, s17
	;; [unrolled: 1-line block ×3, first 2 shown]
	v_ashrrev_i32_e32 v59, 31, v58
	s_mov_b32 s0, 0x55555555
	s_mov_b32 s1, 0x3fb55555
	s_waitcnt vmcnt(3)
	v_ashrrev_i32_e32 v17, 31, v14
	v_mov_b32_e32 v16, v14
	v_ashrrev_i32_e32 v19, 31, v15
	v_mov_b32_e32 v18, v15
	s_waitcnt vmcnt(2)
	v_ashrrev_i32_e32 v15, 31, v6
	v_mov_b32_e32 v14, v6
	v_ashrrev_i32_e32 v21, 31, v7
	v_mov_b32_e32 v20, v7
	;; [unrolled: 5-line block ×3, first 2 shown]
	v_lshlrev_b64 v[2:3], 3, v[16:17]
	v_add_co_u32_e32 v26, vcc, s14, v2
	v_lshlrev_b64 v[14:15], 3, v[14:15]
	v_addc_co_u32_e32 v27, vcc, v54, v3, vcc
	v_add_co_u32_e32 v34, vcc, s14, v14
	v_lshlrev_b64 v[16:17], 3, v[20:21]
	v_addc_co_u32_e32 v35, vcc, v54, v15, vcc
	v_add_co_u32_e32 v30, vcc, s14, v16
	v_lshlrev_b64 v[32:33], 3, v[6:7]
	v_addc_co_u32_e32 v31, vcc, v54, v17, vcc
	v_add_co_u32_e32 v50, vcc, s14, v32
	v_lshlrev_b64 v[28:29], 3, v[18:19]
	v_addc_co_u32_e32 v51, vcc, v54, v33, vcc
	v_add_co_u32_e32 v52, vcc, s16, v28
	v_addc_co_u32_e32 v53, vcc, v48, v29, vcc
	v_add_co_u32_e32 v36, vcc, s16, v14
	v_addc_co_u32_e32 v37, vcc, v48, v15, vcc
	v_add_co_u32_e32 v38, vcc, s16, v16
	v_lshlrev_b64 v[42:43], 3, v[22:23]
	v_addc_co_u32_e32 v39, vcc, v48, v17, vcc
	v_add_co_u32_e32 v60, vcc, s16, v42
	v_addc_co_u32_e32 v61, vcc, v48, v43, vcc
	v_add_co_u32_e32 v40, vcc, s18, v2
	;; [unrolled: 2-line block ×5, first 2 shown]
	v_addc_co_u32_e32 v63, vcc, v56, v33, vcc
	global_load_dwordx2 v[16:17], v[30:31], off
	global_load_dwordx2 v[14:15], v[46:47], off
	;; [unrolled: 1-line block ×7, first 2 shown]
	v_add_co_u32_e32 v36, vcc, s14, v28
	v_addc_co_u32_e32 v37, vcc, v54, v29, vcc
	v_add_co_u32_e32 v28, vcc, s18, v28
	v_addc_co_u32_e32 v29, vcc, v56, v29, vcc
	;; [unrolled: 2-line block ×5, first 2 shown]
	global_load_dwordx2 v[26:27], v[34:35], off
	global_load_dwordx2 v[30:31], v[36:37], off
	s_nop 0
	global_load_dwordx2 v[34:35], v[44:45], off
	global_load_dwordx2 v[40:41], v[28:29], off
	s_nop 0
	global_load_dwordx2 v[28:29], v[60:61], off
	global_load_dwordx2 v[32:33], v[64:65], off
	;; [unrolled: 1-line block ×6, first 2 shown]
	v_add_co_u32_e32 v2, vcc, s18, v42
	v_addc_co_u32_e32 v3, vcc, v56, v43, vcc
	global_load_dwordx2 v[42:43], v[2:3], off
	s_waitcnt vmcnt(18)
	v_ashrrev_i32_e32 v3, 31, v10
	v_mov_b32_e32 v2, v10
	v_lshlrev_b64 v[2:3], 3, v[2:3]
	v_add_co_u32_e32 v60, vcc, s14, v2
	v_addc_co_u32_e32 v61, vcc, v54, v3, vcc
	v_add_co_u32_e32 v50, vcc, s16, v2
	v_ashrrev_i32_e32 v53, 31, v11
	v_mov_b32_e32 v52, v11
	v_addc_co_u32_e32 v51, vcc, v48, v3, vcc
	v_lshlrev_b64 v[62:63], 3, v[52:53]
	v_add_co_u32_e32 v52, vcc, s16, v62
	v_addc_co_u32_e32 v53, vcc, v48, v63, vcc
	global_load_dwordx2 v[48:49], v[50:51], off
	global_load_dwordx2 v[10:11], v[52:53], off
	v_add_co_u32_e32 v2, vcc, s18, v2
	v_addc_co_u32_e32 v3, vcc, v56, v3, vcc
	global_load_dwordx2 v[52:53], v[60:61], off
	global_load_dwordx2 v[50:51], v[2:3], off
	v_add_co_u32_e32 v2, vcc, s14, v62
	v_addc_co_u32_e32 v3, vcc, v54, v63, vcc
	global_load_dwordx2 v[54:55], v[2:3], off
	v_add_co_u32_e32 v2, vcc, s18, v62
	v_addc_co_u32_e32 v3, vcc, v56, v63, vcc
	global_load_dwordx2 v[56:57], v[2:3], off
	s_waitcnt vmcnt(21)
	v_add_f64 v[60:61], v[6:7], -v[14:15]
	global_load_dwordx2 v[12:13], v[12:13], off offset:24
	s_waitcnt vmcnt(13)
	v_add_f64 v[64:65], v[28:29], -v[20:21]
	s_waitcnt vmcnt(12)
	v_add_f64 v[66:67], v[32:33], -v[18:19]
	v_add_f64 v[106:107], v[26:27], -v[24:25]
	v_add_f64 v[104:105], v[34:35], -v[22:23]
	s_waitcnt vmcnt(9)
	v_add_f64 v[62:63], v[38:39], -v[16:17]
	v_add_f64 v[110:111], v[18:19], -v[44:45]
	;; [unrolled: 1-line block ×3, first 2 shown]
	v_mul_f64 v[2:3], v[62:63], v[104:105]
	v_add_f64 v[116:117], v[16:17], -v[30:31]
	s_waitcnt vmcnt(8)
	v_add_f64 v[82:83], v[36:37], -v[26:27]
	v_add_f64 v[68:69], v[110:111], v[64:65]
	v_mul_f64 v[70:71], v[112:113], v[60:61]
	v_fma_f64 v[2:3], v[106:107], v[60:61], -v[2:3]
	v_mul_f64 v[2:3], v[68:69], v[2:3]
	v_add_f64 v[68:69], v[116:117], v[82:83]
	v_fma_f64 v[70:71], v[66:67], v[104:105], -v[70:71]
	v_add_f64 v[114:115], v[14:15], -v[40:41]
	s_waitcnt vmcnt(7)
	v_add_f64 v[80:81], v[42:43], -v[34:35]
	v_fmac_f64_e32 v[2:3], v[68:69], v[70:71]
	v_mul_f64 v[68:69], v[106:107], v[66:67]
	v_add_f64 v[70:71], v[114:115], v[80:81]
	v_fma_f64 v[68:69], v[62:63], v[112:113], -v[68:69]
	v_fmac_f64_e32 v[2:3], v[68:69], v[70:71]
	v_add_f64 v[72:73], v[36:37], -v[24:25]
	s_waitcnt vmcnt(6)
	v_add_f64 v[68:69], v[48:49], -v[18:19]
	s_waitcnt vmcnt(5)
	v_add_f64 v[70:71], v[10:11], -v[28:29]
	v_add_f64 v[74:75], v[68:69], v[70:71]
	v_add_f64 v[70:71], v[42:43], -v[22:23]
	v_add_f64 v[108:109], v[32:33], -v[48:49]
	s_waitcnt vmcnt(4)
	v_add_f64 v[102:103], v[38:39], -v[52:53]
	s_waitcnt vmcnt(3)
	v_add_f64 v[100:101], v[6:7], -v[50:51]
	v_mul_f64 v[76:77], v[102:103], v[70:71]
	v_fma_f64 v[76:77], v[72:73], v[100:101], -v[76:77]
	v_mul_f64 v[84:85], v[74:75], v[76:77]
	v_add_f64 v[74:75], v[52:53], -v[16:17]
	s_waitcnt vmcnt(2)
	v_add_f64 v[76:77], v[54:55], -v[36:37]
	v_add_f64 v[78:79], v[74:75], v[76:77]
	v_add_f64 v[76:77], v[28:29], -v[46:47]
	v_mul_f64 v[86:87], v[76:77], v[100:101]
	v_fma_f64 v[86:87], v[108:109], v[70:71], -v[86:87]
	v_fmac_f64_e32 v[84:85], v[78:79], v[86:87]
	v_add_f64 v[78:79], v[50:51], -v[14:15]
	s_waitcnt vmcnt(1)
	v_add_f64 v[86:87], v[56:57], -v[42:43]
	v_mul_f64 v[88:89], v[72:73], v[108:109]
	v_add_f64 v[86:87], v[78:79], v[86:87]
	v_fma_f64 v[88:89], v[102:103], v[76:77], -v[88:89]
	v_fmac_f64_e32 v[84:85], v[88:89], v[86:87]
	v_add_f64 v[86:87], v[30:31], -v[52:53]
	v_add_f64 v[88:89], v[26:27], -v[54:55]
	v_add_f64 v[86:87], v[86:87], v[88:89]
	v_add_f64 v[88:89], v[44:45], -v[48:49]
	v_add_f64 v[90:91], v[20:21], -v[10:11]
	v_add_f64 v[92:93], v[88:89], v[90:91]
	v_add_f64 v[90:91], v[38:39], -v[30:31]
	v_add_f64 v[94:95], v[56:57], -v[22:23]
	;; [unrolled: 1-line block ×4, first 2 shown]
	v_mul_f64 v[98:99], v[90:91], v[94:95]
	v_fma_f64 v[98:99], v[96:97], v[88:89], -v[98:99]
	v_mul_f64 v[118:119], v[92:93], v[98:99]
	v_add_f64 v[98:99], v[10:11], -v[46:47]
	v_add_f64 v[92:93], v[32:33], -v[44:45]
	v_mul_f64 v[120:121], v[98:99], v[88:89]
	v_fma_f64 v[120:121], v[92:93], v[94:95], -v[120:121]
	v_fmac_f64_e32 v[118:119], v[86:87], v[120:121]
	v_add_f64 v[86:87], v[40:41], -v[50:51]
	v_add_f64 v[120:121], v[34:35], -v[56:57]
	v_add_f64 v[86:87], v[86:87], v[120:121]
	v_mul_f64 v[120:121], v[96:97], v[92:93]
	v_fma_f64 v[120:121], v[90:91], v[98:99], -v[120:121]
	v_fmac_f64_e32 v[118:119], v[120:121], v[86:87]
	v_add_f64 v[86:87], v[2:3], v[84:85]
	v_lshlrev_b64 v[2:3], 3, v[58:59]
	v_mov_b32_e32 v59, s23
	v_add_co_u32_e32 v58, vcc, s22, v2
	v_addc_co_u32_e32 v59, vcc, v59, v3, vcc
	global_load_dwordx2 v[84:85], v[58:59], off
	v_add_f64 v[58:59], v[118:119], v[86:87]
	v_mul_f64 v[58:59], v[58:59], s[0:1]
	s_load_dwordx8 s[16:23], s[4:5], 0x60
	s_waitcnt vmcnt(0)
	v_div_scale_f64 v[86:87], s[0:1], v[84:85], v[84:85], v[58:59]
	v_rcp_f64_e32 v[118:119], v[86:87]
	s_load_dwordx8 s[0:7], s[4:5], 0x40
	v_fma_f64 v[120:121], -v[86:87], v[118:119], 1.0
	v_fmac_f64_e32 v[118:119], v[118:119], v[120:121]
	v_fma_f64 v[120:121], -v[86:87], v[118:119], 1.0
	v_fmac_f64_e32 v[118:119], v[118:119], v[120:121]
	v_div_scale_f64 v[120:121], vcc, v[58:59], v[84:85], v[58:59]
	v_mul_f64 v[122:123], v[120:121], v[118:119]
	v_fma_f64 v[86:87], -v[86:87], v[122:123], v[120:121]
	s_nop 1
	v_div_fmas_f64 v[86:87], v[86:87], v[118:119], v[122:123]
	v_add_f64 v[118:119], v[106:107], -v[116:117]
	v_add_f64 v[106:107], v[106:107], v[116:117]
	v_add_f64 v[116:117], v[112:113], -v[110:111]
	v_add_f64 v[110:111], v[112:113], v[110:111]
	;; [unrolled: 2-line block ×3, first 2 shown]
	v_mul_f64 v[114:115], v[116:117], v[116:117]
	v_mul_f64 v[116:117], v[116:117], v[110:111]
	v_fmac_f64_e32 v[116:117], v[118:119], v[106:107]
	v_mul_f64 v[110:111], v[110:111], v[110:111]
	v_fmac_f64_e32 v[114:115], v[118:119], v[118:119]
	v_fmac_f64_e32 v[110:111], v[106:107], v[106:107]
	;; [unrolled: 1-line block ×5, first 2 shown]
	v_mul_f64 v[104:105], v[116:117], v[116:117]
	v_add_f64 v[106:107], v[36:37], -v[54:55]
	v_fma_f64 v[104:105], v[114:115], v[110:111], -v[104:105]
	v_add_f64 v[110:111], v[102:103], -v[106:107]
	v_add_f64 v[102:103], v[102:103], v[106:107]
	v_add_f64 v[106:107], v[28:29], -v[10:11]
	v_add_f64 v[112:113], v[108:109], -v[106:107]
	v_add_f64 v[106:107], v[108:109], v[106:107]
	v_add_f64 v[108:109], v[42:43], -v[56:57]
	v_add_f64 v[114:115], v[100:101], -v[108:109]
	v_add_f64 v[100:101], v[100:101], v[108:109]
	v_mul_f64 v[108:109], v[112:113], v[112:113]
	v_mul_f64 v[112:113], v[112:113], v[106:107]
	v_fmac_f64_e32 v[112:113], v[110:111], v[102:103]
	v_mul_f64 v[106:107], v[106:107], v[106:107]
	v_fmac_f64_e32 v[108:109], v[110:111], v[110:111]
	v_fmac_f64_e32 v[106:107], v[102:103], v[102:103]
	;; [unrolled: 1-line block ×5, first 2 shown]
	v_mul_f64 v[100:101], v[112:113], v[112:113]
	v_fma_f64 v[100:101], v[108:109], v[106:107], -v[100:101]
	v_max_f64 v[102:103], v[104:105], 0
	v_cmp_gt_f64_e32 vcc, v[100:101], v[102:103]
	v_cndmask_b32_e32 v101, v103, v101, vcc
	v_cndmask_b32_e32 v100, v102, v100, vcc
	v_add_f64 v[102:103], v[52:53], -v[30:31]
	v_add_f64 v[104:105], v[96:97], -v[102:103]
	v_add_f64 v[96:97], v[102:103], v[96:97]
	v_add_f64 v[102:103], v[48:49], -v[44:45]
	v_add_f64 v[106:107], v[98:99], -v[102:103]
	v_add_f64 v[98:99], v[102:103], v[98:99]
	;; [unrolled: 3-line block ×3, first 2 shown]
	v_mul_f64 v[102:103], v[106:107], v[106:107]
	v_mul_f64 v[106:107], v[106:107], v[98:99]
	v_fmac_f64_e32 v[106:107], v[104:105], v[96:97]
	v_mul_f64 v[98:99], v[98:99], v[98:99]
	v_fmac_f64_e32 v[102:103], v[104:105], v[104:105]
	v_fmac_f64_e32 v[98:99], v[96:97], v[96:97]
	;; [unrolled: 1-line block ×5, first 2 shown]
	v_mul_f64 v[94:95], v[106:107], v[106:107]
	v_fma_f64 v[94:95], v[102:103], v[98:99], -v[94:95]
	v_add_f64 v[96:97], v[54:55], -v[26:27]
	v_cmp_gt_f64_e32 vcc, v[94:95], v[100:101]
	v_add_f64 v[98:99], v[90:91], -v[96:97]
	v_add_f64 v[90:91], v[96:97], v[90:91]
	v_add_f64 v[96:97], v[10:11], -v[20:21]
	v_cndmask_b32_e32 v95, v101, v95, vcc
	v_cndmask_b32_e32 v94, v100, v94, vcc
	v_add_f64 v[100:101], v[92:93], -v[96:97]
	v_add_f64 v[92:93], v[96:97], v[92:93]
	v_add_f64 v[96:97], v[56:57], -v[34:35]
	v_add_f64 v[102:103], v[88:89], -v[96:97]
	v_add_f64 v[88:89], v[96:97], v[88:89]
	v_mul_f64 v[96:97], v[100:101], v[100:101]
	v_mul_f64 v[100:101], v[100:101], v[92:93]
	;; [unrolled: 1-line block ×3, first 2 shown]
	v_fmac_f64_e32 v[100:101], v[98:99], v[90:91]
	v_fmac_f64_e32 v[92:93], v[90:91], v[90:91]
	v_add_f64 v[90:91], v[82:83], -v[62:63]
	v_add_f64 v[62:63], v[62:63], v[82:83]
	v_add_f64 v[82:83], v[64:65], -v[66:67]
	v_add_f64 v[64:65], v[66:67], v[64:65]
	v_fmac_f64_e32 v[96:97], v[98:99], v[98:99]
	v_fmac_f64_e32 v[100:101], v[102:103], v[88:89]
	v_add_f64 v[66:67], v[80:81], -v[60:61]
	v_add_f64 v[60:61], v[60:61], v[80:81]
	v_mul_f64 v[80:81], v[82:83], v[82:83]
	v_mul_f64 v[82:83], v[82:83], v[64:65]
	v_fmac_f64_e32 v[96:97], v[102:103], v[102:103]
	v_fmac_f64_e32 v[92:93], v[88:89], v[88:89]
	v_mul_f64 v[88:89], v[100:101], v[100:101]
	v_fmac_f64_e32 v[82:83], v[90:91], v[62:63]
	v_mul_f64 v[64:65], v[64:65], v[64:65]
	v_fma_f64 v[88:89], v[96:97], v[92:93], -v[88:89]
	v_fmac_f64_e32 v[80:81], v[90:91], v[90:91]
	v_fmac_f64_e32 v[64:65], v[62:63], v[62:63]
	;; [unrolled: 1-line block ×3, first 2 shown]
	v_cmp_gt_f64_e32 vcc, v[88:89], v[94:95]
	v_fmac_f64_e32 v[80:81], v[66:67], v[66:67]
	v_fmac_f64_e32 v[64:65], v[60:61], v[60:61]
	v_mul_f64 v[60:61], v[82:83], v[82:83]
	v_cndmask_b32_e32 v89, v95, v89, vcc
	v_cndmask_b32_e32 v88, v94, v88, vcc
	v_fma_f64 v[60:61], v[80:81], v[64:65], -v[60:61]
	v_add_f64 v[80:81], v[74:75], -v[72:73]
	v_add_f64 v[72:73], v[74:75], v[72:73]
	v_add_f64 v[74:75], v[68:69], -v[76:77]
	v_add_f64 v[68:69], v[68:69], v[76:77]
	v_cmp_gt_f64_e32 vcc, v[60:61], v[88:89]
	v_add_f64 v[76:77], v[78:79], -v[70:71]
	v_add_f64 v[70:71], v[78:79], v[70:71]
	v_mul_f64 v[78:79], v[74:75], v[74:75]
	v_mul_f64 v[74:75], v[74:75], v[68:69]
	v_cndmask_b32_e32 v65, v89, v61, vcc
	v_cndmask_b32_e32 v64, v88, v60, vcc
	s_waitcnt lgkmcnt(0)
	v_mov_b32_e32 v63, s21
	v_add_co_u32_e32 v62, vcc, s20, v2
	v_fmac_f64_e32 v[74:75], v[80:81], v[72:73]
	v_mul_f64 v[68:69], v[68:69], v[68:69]
	v_addc_co_u32_e32 v63, vcc, v63, v3, vcc
	v_fmac_f64_e32 v[78:79], v[80:81], v[80:81]
	v_fmac_f64_e32 v[68:69], v[72:73], v[72:73]
	;; [unrolled: 1-line block ×3, first 2 shown]
	v_mov_b32_e32 v67, s1
	v_add_co_u32_e32 v66, vcc, s0, v2
	v_fmac_f64_e32 v[78:79], v[76:77], v[76:77]
	v_fmac_f64_e32 v[68:69], v[70:71], v[70:71]
	v_mul_f64 v[70:71], v[74:75], v[74:75]
	v_ashrrev_i32_e32 v73, 31, v4
	v_mov_b32_e32 v72, v4
	v_addc_co_u32_e32 v67, vcc, v67, v3, vcc
	v_fma_f64 v[68:69], v[78:79], v[68:69], -v[70:71]
	v_ashrrev_i32_e32 v71, 31, v5
	v_mov_b32_e32 v70, v5
	v_ashrrev_i32_e32 v5, 31, v8
	v_mov_b32_e32 v4, v8
	;; [unrolled: 2-line block ×5, first 2 shown]
	v_lshlrev_b64 v[0:1], 3, v[72:73]
	v_mov_b32_e32 v90, s9
	v_add_co_u32_e32 v72, vcc, s8, v0
	v_addc_co_u32_e32 v73, vcc, v90, v1, vcc
	v_mov_b32_e32 v91, s11
	v_add_co_u32_e32 v78, vcc, s10, v0
	v_addc_co_u32_e32 v79, vcc, v91, v1, vcc
	;; [unrolled: 3-line block ×3, first 2 shown]
	v_lshlrev_b64 v[70:71], 3, v[70:71]
	v_add_co_u32_e32 v80, vcc, s8, v70
	v_addc_co_u32_e32 v81, vcc, v90, v71, vcc
	v_add_co_u32_e32 v82, vcc, s10, v70
	v_addc_co_u32_e32 v83, vcc, v91, v71, vcc
	;; [unrolled: 2-line block ×3, first 2 shown]
	v_lshlrev_b64 v[4:5], 3, v[4:5]
	v_div_fixup_f64 v[60:61], v[86:87], v[84:85], v[58:59]
	v_add_co_u32_e32 v84, vcc, s8, v4
	v_addc_co_u32_e32 v85, vcc, v90, v5, vcc
	v_add_co_u32_e32 v86, vcc, s10, v4
	v_addc_co_u32_e32 v87, vcc, v91, v5, vcc
	;; [unrolled: 2-line block ×3, first 2 shown]
	v_lshlrev_b64 v[74:75], 3, v[74:75]
	v_add_co_u32_e32 v88, vcc, s8, v74
	v_addc_co_u32_e32 v89, vcc, v90, v75, vcc
	global_load_dwordx2 v[66:67], v[66:67], off
	v_add_co_u32_e32 v92, vcc, s10, v74
	v_addc_co_u32_e32 v93, vcc, v91, v75, vcc
	v_add_co_u32_e32 v94, vcc, s12, v74
	v_addc_co_u32_e32 v95, vcc, v98, v75, vcc
	v_lshlrev_b64 v[8:9], 3, v[8:9]
	v_add_co_u32_e32 v96, vcc, s8, v8
	v_addc_co_u32_e32 v97, vcc, v90, v9, vcc
	v_add_co_u32_e32 v106, vcc, s10, v8
	v_addc_co_u32_e32 v107, vcc, v91, v9, vcc
	;; [unrolled: 2-line block ×3, first 2 shown]
	v_lshlrev_b64 v[8:9], 3, v[76:77]
	v_add_co_u32_e32 v110, vcc, s8, v8
	v_addc_co_u32_e32 v111, vcc, v90, v9, vcc
	v_add_co_u32_e32 v112, vcc, s10, v8
	v_addc_co_u32_e32 v113, vcc, v91, v9, vcc
	;; [unrolled: 2-line block ×3, first 2 shown]
	v_ashrrev_i32_e32 v9, 31, v12
	v_mov_b32_e32 v8, v12
	v_lshlrev_b64 v[8:9], 3, v[8:9]
	v_add_co_u32_e32 v116, vcc, s8, v8
	v_addc_co_u32_e32 v117, vcc, v90, v9, vcc
	v_add_co_u32_e32 v118, vcc, s10, v8
	v_addc_co_u32_e32 v119, vcc, v91, v9, vcc
	;; [unrolled: 2-line block ×3, first 2 shown]
	v_ashrrev_i32_e32 v9, 31, v13
	v_mov_b32_e32 v8, v13
	v_lshlrev_b64 v[8:9], 3, v[8:9]
	v_add_co_u32_e32 v122, vcc, s8, v8
	v_addc_co_u32_e32 v123, vcc, v90, v9, vcc
	v_add_co_u32_e32 v124, vcc, s10, v8
	v_addc_co_u32_e32 v125, vcc, v91, v9, vcc
	;; [unrolled: 2-line block ×3, first 2 shown]
	global_load_dwordx2 v[100:101], v[72:73], off
	global_load_dwordx2 v[74:75], v[78:79], off
	s_nop 0
	global_load_dwordx2 v[0:1], v[0:1], off
	s_nop 0
	;; [unrolled: 2-line block ×3, first 2 shown]
	global_load_dwordx2 v[80:81], v[82:83], off
	global_load_dwordx2 v[12:13], v[70:71], off
	;; [unrolled: 1-line block ×4, first 2 shown]
	s_nop 0
	global_load_dwordx2 v[4:5], v[4:5], off
	s_nop 0
	global_load_dwordx2 v[90:91], v[88:89], off
	global_load_dwordx2 v[78:79], v[92:93], off
	;; [unrolled: 1-line block ×6, first 2 shown]
	s_nop 0
	global_load_dwordx2 v[92:93], v[110:111], off
	global_load_dwordx2 v[84:85], v[112:113], off
	;; [unrolled: 1-line block ×9, first 2 shown]
	v_cmp_gt_f64_e32 vcc, v[68:69], v[64:65]
	s_mov_b32 s0, 0
	v_cndmask_b32_e32 v65, v65, v69, vcc
	v_cndmask_b32_e32 v64, v64, v68, vcc
	s_brev_b32 s1, 8
	v_cmp_gt_f64_e32 vcc, s[0:1], v[64:65]
	v_cndmask_b32_e64 v68, 0, 1, vcc
	v_lshlrev_b32_e32 v68, 8, v68
	v_ldexp_f64 v[64:65], v[64:65], v68
	v_rsq_f64_e32 v[68:69], v[64:65]
	global_store_dwordx2 v[62:63], v[60:61], off
	v_mul_f64 v[58:59], v[58:59], 4.0
	v_mov_b32_e32 v110, s3
	v_mul_f64 v[62:63], v[64:65], v[68:69]
	s_waitcnt vmcnt(25)
	v_add_f64 v[60:61], v[60:61], -v[66:67]
	v_mul_f64 v[66:67], v[68:69], 0.5
	v_fma_f64 v[68:69], -v[66:67], v[62:63], 0.5
	v_fmac_f64_e32 v[62:63], v[62:63], v[68:69]
	v_fmac_f64_e32 v[66:67], v[66:67], v[68:69]
	v_fma_f64 v[68:69], -v[62:63], v[62:63], v[64:65]
	v_fmac_f64_e32 v[62:63], v[68:69], v[66:67]
	v_fma_f64 v[68:69], -v[62:63], v[62:63], v[64:65]
	v_fmac_f64_e32 v[62:63], v[68:69], v[66:67]
	v_mov_b32_e32 v66, 0xffffff80
	v_cndmask_b32_e32 v66, 0, v66, vcc
	v_ldexp_f64 v[62:63], v[62:63], v66
	v_mov_b32_e32 v66, 0x260
	v_cmp_class_f64_e32 vcc, v[64:65], v66
	v_cndmask_b32_e32 v63, v63, v65, vcc
	v_cndmask_b32_e32 v62, v62, v64, vcc
	v_div_scale_f64 v[64:65], s[0:1], v[62:63], v[62:63], v[58:59]
	v_rcp_f64_e32 v[66:67], v[64:65]
	v_add_co_u32_e32 v68, vcc, s2, v2
	v_addc_co_u32_e32 v69, vcc, v110, v3, vcc
	global_store_dwordx2 v[68:69], v[60:61], off
	v_fma_f64 v[60:61], -v[64:65], v[66:67], 1.0
	v_fmac_f64_e32 v[66:67], v[66:67], v[60:61]
	v_fma_f64 v[60:61], -v[64:65], v[66:67], 1.0
	v_fmac_f64_e32 v[66:67], v[66:67], v[60:61]
	v_div_scale_f64 v[60:61], vcc, v[58:59], v[62:63], v[58:59]
	v_mul_f64 v[68:69], v[60:61], v[66:67]
	v_fma_f64 v[60:61], -v[64:65], v[68:69], v[60:61]
	s_nop 1
	v_div_fmas_f64 v[60:61], v[60:61], v[66:67], v[68:69]
	v_div_fixup_f64 v[58:59], v[60:61], v[62:63], v[58:59]
	v_mov_b32_e32 v61, s5
	v_add_co_u32_e32 v60, vcc, s4, v2
	v_addc_co_u32_e32 v61, vcc, v61, v3, vcc
	global_store_dwordx2 v[60:61], v[58:59], off
	v_mul_f64 v[58:59], s[22:23], 0.5
	s_waitcnt vmcnt(26)
	v_fma_f64 v[24:25], -v[58:59], v[100:101], v[24:25]
	s_waitcnt vmcnt(25)
	v_fma_f64 v[46:47], -v[58:59], v[74:75], v[46:47]
	;; [unrolled: 2-line block ×13, first 2 shown]
	v_add_f64 v[26:27], v[52:53], -v[26:27]
	s_waitcnt vmcnt(13)
	v_fma_f64 v[48:49], -v[58:59], v[82:83], v[48:49]
	s_waitcnt vmcnt(11)
	v_fma_f64 v[54:55], -v[58:59], v[92:93], v[54:55]
	v_add_f64 v[16:17], v[54:55], -v[16:17]
	s_waitcnt vmcnt(10)
	v_fma_f64 v[10:11], -v[58:59], v[84:85], v[10:11]
	s_waitcnt vmcnt(8)
	v_fma_f64 v[38:39], -v[58:59], v[106:107], v[38:39]
	;; [unrolled: 5-line block ×3, first 2 shown]
	v_add_f64 v[30:31], v[36:37], -v[30:31]
	v_add_f64 v[36:37], v[16:17], v[24:25]
	v_add_f64 v[16:17], v[24:25], -v[16:17]
	v_add_f64 v[16:17], v[30:31], v[16:17]
	;; [unrolled: 2-line block ×3, first 2 shown]
	s_waitcnt vmcnt(4)
	v_fma_f64 v[28:29], -v[58:59], v[96:97], v[28:29]
	v_add_f64 v[24:25], v[24:25], -v[26:27]
	v_add_f64 v[16:17], v[16:17], -v[26:27]
	v_add_f64 v[26:27], v[26:27], v[30:31]
	v_add_f64 v[30:31], v[32:33], -v[46:47]
	v_add_f64 v[10:11], v[10:11], -v[18:19]
	v_fma_f64 v[56:57], -v[58:59], v[72:73], v[56:57]
	v_fma_f64 v[6:7], -v[58:59], v[86:87], v[6:7]
	v_add_f64 v[18:19], v[28:29], -v[44:45]
	v_add_f64 v[28:29], v[10:11], v[30:31]
	v_add_f64 v[10:11], v[30:31], -v[10:11]
	s_waitcnt vmcnt(3)
	v_fma_f64 v[42:43], -v[58:59], v[88:89], v[42:43]
	v_add_f64 v[20:21], v[48:49], -v[20:21]
	v_add_f64 v[10:11], v[18:19], v[10:11]
	v_add_f64 v[30:31], v[28:29], -v[18:19]
	v_add_f64 v[18:19], v[18:19], v[28:29]
	v_add_f64 v[6:7], v[6:7], -v[22:23]
	v_add_f64 v[14:15], v[56:57], -v[14:15]
	v_fma_f64 v[50:51], -v[58:59], v[70:71], v[50:51]
	v_add_f64 v[28:29], v[30:31], -v[20:21]
	v_add_f64 v[10:11], v[10:11], -v[20:21]
	v_add_f64 v[18:19], v[20:21], v[18:19]
	v_add_f64 v[20:21], v[42:43], -v[40:41]
	v_add_f64 v[30:31], v[14:15], v[6:7]
	v_add_f64 v[22:23], v[50:51], -v[34:35]
	v_add_f64 v[6:7], v[6:7], -v[14:15]
	;; [unrolled: 1-line block ×3, first 2 shown]
	v_add_f64 v[6:7], v[6:7], v[20:21]
	v_add_f64 v[20:21], v[30:31], v[20:21]
	v_add_f64 v[14:15], v[14:15], -v[22:23]
	v_add_f64 v[6:7], v[6:7], -v[22:23]
	v_add_f64 v[20:21], v[22:23], v[20:21]
	v_ldexp_f64 v[22:23], v[24:25], -3
	v_ldexp_f64 v[24:25], v[26:27], -3
	;; [unrolled: 1-line block ×6, first 2 shown]
	v_mul_f64 v[32:33], v[24:25], v[14:15]
	v_ldexp_f64 v[16:17], v[16:17], -3
	v_ldexp_f64 v[18:19], v[18:19], -3
	;; [unrolled: 1-line block ×3, first 2 shown]
	v_mul_f64 v[30:31], v[26:27], v[20:21]
	v_fma_f64 v[32:33], v[22:23], v[20:21], -v[32:33]
	v_mul_f64 v[34:35], v[10:11], v[24:25]
	v_mul_f64 v[28:29], v[18:19], v[6:7]
	v_fma_f64 v[30:31], v[18:19], v[14:15], -v[30:31]
	v_fma_f64 v[34:35], v[18:19], v[16:17], -v[34:35]
	v_mul_f64 v[18:19], v[18:19], v[22:23]
	v_mul_f64 v[36:37], v[10:11], v[32:33]
	v_fma_f64 v[18:19], v[26:27], v[24:25], -v[18:19]
	v_fmac_f64_e32 v[36:37], v[16:17], v[30:31]
	v_fmac_f64_e32 v[36:37], v[18:19], v[6:7]
	v_ldexp_f64 v[36:37], v[36:37], 3
	v_div_scale_f64 v[38:39], s[0:1], v[36:37], v[36:37], 1.0
	v_fma_f64 v[28:29], v[10:11], v[20:21], -v[28:29]
	v_mul_f64 v[20:21], v[16:17], v[20:21]
	v_rcp_f64_e32 v[40:41], v[38:39]
	v_fma_f64 v[20:21], v[24:25], v[6:7], -v[20:21]
	v_mul_f64 v[24:25], v[22:23], v[6:7]
	v_fma_f64 v[24:25], v[16:17], v[14:15], -v[24:25]
	v_mul_f64 v[14:15], v[10:11], v[14:15]
	;; [unrolled: 2-line block ×3, first 2 shown]
	v_fma_f64 v[10:11], v[10:11], v[22:23], -v[14:15]
	v_fma_f64 v[14:15], -v[38:39], v[40:41], 1.0
	v_fmac_f64_e32 v[40:41], v[40:41], v[14:15]
	v_fma_f64 v[14:15], -v[38:39], v[40:41], 1.0
	v_fmac_f64_e32 v[40:41], v[40:41], v[14:15]
	v_div_scale_f64 v[14:15], vcc, 1.0, v[36:37], 1.0
	v_add_f64 v[26:27], v[28:29], -v[30:31]
	v_mul_f64 v[16:17], v[14:15], v[40:41]
	v_add_f64 v[22:23], v[102:103], -v[108:109]
	v_add_f64 v[26:27], v[26:27], -v[6:7]
	v_fma_f64 v[14:15], -v[38:39], v[16:17], v[14:15]
	v_mul_f64 v[22:23], v[22:23], v[26:27]
	v_add_f64 v[26:27], -v[28:29], -v[30:31]
	v_div_fmas_f64 v[14:15], v[14:15], v[40:41], v[16:17]
	v_add_f64 v[16:17], v[100:101], -v[106:107]
	v_add_f64 v[26:27], v[26:27], -v[6:7]
	v_fmac_f64_e32 v[22:23], v[16:17], v[26:27]
	v_add_f64 v[26:27], v[28:29], v[30:31]
	v_add_f64 v[16:17], v[98:99], -v[104:105]
	v_add_f64 v[26:27], v[26:27], -v[6:7]
	v_fmac_f64_e32 v[22:23], v[16:17], v[26:27]
	v_add_f64 v[16:17], v[30:31], -v[28:29]
	v_add_f64 v[6:7], v[16:17], -v[6:7]
	v_add_f64 v[16:17], -v[20:21], -v[32:33]
	v_add_f64 v[26:27], v[20:21], -v[32:33]
	v_add_f64 v[28:29], v[20:21], v[32:33]
	v_add_f64 v[20:21], v[32:33], -v[20:21]
	v_add_f64 v[16:17], v[16:17], -v[24:25]
	;; [unrolled: 1-line block ×5, first 2 shown]
	v_add_f64 v[24:25], -v[34:35], -v[18:19]
	v_add_f64 v[30:31], v[34:35], -v[18:19]
	v_add_f64 v[32:33], v[34:35], v[18:19]
	v_add_f64 v[18:19], v[18:19], -v[34:35]
	v_add_f64 v[24:25], v[24:25], -v[10:11]
	v_add_f64 v[30:31], v[30:31], -v[10:11]
	v_add_f64 v[32:33], v[32:33], -v[10:11]
	v_add_f64 v[10:11], v[18:19], -v[10:11]
	v_add_f64 v[18:19], v[90:91], -v[92:93]
	v_div_fixup_f64 v[14:15], v[14:15], v[36:37], 1.0
	v_fmac_f64_e32 v[22:23], v[6:7], v[18:19]
	v_mul_f64 v[6:7], v[14:15], v[22:23]
	v_add_f64 v[22:23], v[80:81], -v[96:97]
	v_add_f64 v[12:13], v[12:13], -v[88:89]
	;; [unrolled: 1-line block ×3, first 2 shown]
	v_mul_f64 v[22:23], v[26:27], v[22:23]
	v_add_f64 v[0:1], v[0:1], -v[86:87]
	v_mul_f64 v[12:13], v[30:31], v[12:13]
	v_fmac_f64_e32 v[22:23], v[16:17], v[18:19]
	v_add_f64 v[16:17], v[76:77], -v[82:83]
	v_fmac_f64_e32 v[12:13], v[24:25], v[0:1]
	v_add_f64 v[0:1], v[4:5], -v[70:71]
	v_mov_b32_e32 v5, s7
	v_add_co_u32_e32 v4, vcc, s6, v2
	v_fmac_f64_e32 v[22:23], v[28:29], v[16:17]
	v_add_f64 v[16:17], v[78:79], -v[84:85]
	v_addc_co_u32_e32 v5, vcc, v5, v3, vcc
	v_fmac_f64_e32 v[22:23], v[20:21], v[16:17]
	global_store_dwordx2 v[4:5], v[6:7], off
	v_mov_b32_e32 v5, s17
	v_add_co_u32_e32 v4, vcc, s16, v2
	v_mul_f64 v[16:17], v[14:15], v[22:23]
	v_fmac_f64_e32 v[12:13], v[32:33], v[0:1]
	v_add_f64 v[0:1], v[8:9], -v[72:73]
	v_addc_co_u32_e32 v5, vcc, v5, v3, vcc
	v_fmac_f64_e32 v[12:13], v[10:11], v[0:1]
	global_store_dwordx2 v[4:5], v[16:17], off
	v_mov_b32_e32 v4, s19
	v_add_co_u32_e32 v2, vcc, s18, v2
	v_mul_f64 v[0:1], v[14:15], v[12:13]
	v_addc_co_u32_e32 v3, vcc, v4, v3, vcc
	global_store_dwordx2 v[2:3], v[0:1], off
.LBB10_2:
	s_endpgm
	.section	.rodata,"a",@progbits
	.p2align	6, 0x0
	.amdhsa_kernel _Z22calcKinematicsForElemsPKdS0_S0_S0_S0_S0_PKiS0_S0_PdS3_S3_S3_S3_S3_di
		.amdhsa_group_segment_fixed_size 0
		.amdhsa_private_segment_fixed_size 0
		.amdhsa_kernarg_size 392
		.amdhsa_user_sgpr_count 6
		.amdhsa_user_sgpr_private_segment_buffer 1
		.amdhsa_user_sgpr_dispatch_ptr 0
		.amdhsa_user_sgpr_queue_ptr 0
		.amdhsa_user_sgpr_kernarg_segment_ptr 1
		.amdhsa_user_sgpr_dispatch_id 0
		.amdhsa_user_sgpr_flat_scratch_init 0
		.amdhsa_user_sgpr_kernarg_preload_length 0
		.amdhsa_user_sgpr_kernarg_preload_offset 0
		.amdhsa_user_sgpr_private_segment_size 0
		.amdhsa_uses_dynamic_stack 0
		.amdhsa_system_sgpr_private_segment_wavefront_offset 0
		.amdhsa_system_sgpr_workgroup_id_x 1
		.amdhsa_system_sgpr_workgroup_id_y 0
		.amdhsa_system_sgpr_workgroup_id_z 0
		.amdhsa_system_sgpr_workgroup_info 0
		.amdhsa_system_vgpr_workitem_id 0
		.amdhsa_next_free_vgpr 128
		.amdhsa_next_free_sgpr 24
		.amdhsa_accum_offset 128
		.amdhsa_reserve_vcc 1
		.amdhsa_reserve_flat_scratch 0
		.amdhsa_float_round_mode_32 0
		.amdhsa_float_round_mode_16_64 0
		.amdhsa_float_denorm_mode_32 3
		.amdhsa_float_denorm_mode_16_64 3
		.amdhsa_dx10_clamp 1
		.amdhsa_ieee_mode 1
		.amdhsa_fp16_overflow 0
		.amdhsa_tg_split 0
		.amdhsa_exception_fp_ieee_invalid_op 0
		.amdhsa_exception_fp_denorm_src 0
		.amdhsa_exception_fp_ieee_div_zero 0
		.amdhsa_exception_fp_ieee_overflow 0
		.amdhsa_exception_fp_ieee_underflow 0
		.amdhsa_exception_fp_ieee_inexact 0
		.amdhsa_exception_int_div_zero 0
	.end_amdhsa_kernel
	.text
.Lfunc_end10:
	.size	_Z22calcKinematicsForElemsPKdS0_S0_S0_S0_S0_PKiS0_S0_PdS3_S3_S3_S3_S3_di, .Lfunc_end10-_Z22calcKinematicsForElemsPKdS0_S0_S0_S0_S0_PKiS0_S0_PdS3_S3_S3_S3_S3_di
                                        ; -- End function
	.section	.AMDGPU.csdata,"",@progbits
; Kernel info:
; codeLenInByte = 4456
; NumSgprs: 28
; NumVgprs: 128
; NumAgprs: 0
; TotalNumVgprs: 128
; ScratchSize: 0
; MemoryBound: 0
; FloatMode: 240
; IeeeMode: 1
; LDSByteSize: 0 bytes/workgroup (compile time only)
; SGPRBlocks: 3
; VGPRBlocks: 15
; NumSGPRsForWavesPerEU: 28
; NumVGPRsForWavesPerEU: 128
; AccumOffset: 128
; Occupancy: 4
; WaveLimiterHint : 1
; COMPUTE_PGM_RSRC2:SCRATCH_EN: 0
; COMPUTE_PGM_RSRC2:USER_SGPR: 6
; COMPUTE_PGM_RSRC2:TRAP_HANDLER: 0
; COMPUTE_PGM_RSRC2:TGID_X_EN: 1
; COMPUTE_PGM_RSRC2:TGID_Y_EN: 0
; COMPUTE_PGM_RSRC2:TGID_Z_EN: 0
; COMPUTE_PGM_RSRC2:TIDIG_COMP_CNT: 0
; COMPUTE_PGM_RSRC3_GFX90A:ACCUM_OFFSET: 31
; COMPUTE_PGM_RSRC3_GFX90A:TG_SPLIT: 0
	.text
	.protected	_Z15calcStrainRatesPdS_S_PKdS_Pii ; -- Begin function _Z15calcStrainRatesPdS_S_PKdS_Pii
	.globl	_Z15calcStrainRatesPdS_S_PKdS_Pii
	.p2align	8
	.type	_Z15calcStrainRatesPdS_S_PKdS_Pii,@function
_Z15calcStrainRatesPdS_S_PKdS_Pii:      ; @_Z15calcStrainRatesPdS_S_PKdS_Pii
; %bb.0:
	s_load_dword s0, s[4:5], 0x44
	s_load_dword s1, s[4:5], 0x30
	s_waitcnt lgkmcnt(0)
	s_and_b32 s0, s0, 0xffff
	s_mul_i32 s6, s6, s0
	v_add_u32_e32 v0, s6, v0
	v_cmp_gt_i32_e32 vcc, s1, v0
	s_and_saveexec_b64 s[0:1], vcc
	s_cbranch_execz .LBB11_3
; %bb.1:
	s_load_dwordx8 s[8:15], s[4:5], 0x0
	v_ashrrev_i32_e32 v1, 31, v0
	v_lshlrev_b64 v[2:3], 3, v[0:1]
	s_load_dwordx2 s[0:1], s[4:5], 0x20
	s_mov_b32 s2, 0
	s_waitcnt lgkmcnt(0)
	v_mov_b32_e32 v1, s9
	v_add_co_u32_e32 v4, vcc, s8, v2
	v_addc_co_u32_e32 v5, vcc, v1, v3, vcc
	v_mov_b32_e32 v1, s11
	v_add_co_u32_e32 v8, vcc, s10, v2
	v_addc_co_u32_e32 v9, vcc, v1, v3, vcc
	v_mov_b32_e32 v1, s13
	v_add_co_u32_e32 v12, vcc, s12, v2
	global_load_dwordx2 v[6:7], v[4:5], off
	global_load_dwordx2 v[10:11], v[8:9], off
	v_addc_co_u32_e32 v13, vcc, v1, v3, vcc
	global_load_dwordx2 v[14:15], v[12:13], off
	v_mov_b32_e32 v1, s15
	v_add_co_u32_e32 v16, vcc, s14, v2
	v_addc_co_u32_e32 v17, vcc, v1, v3, vcc
	global_load_dwordx2 v[16:17], v[16:17], off
	s_mov_b32 s3, 0x40080000
	v_mov_b32_e32 v1, s1
	v_add_co_u32_e32 v2, vcc, s0, v2
	v_addc_co_u32_e32 v3, vcc, v1, v3, vcc
	s_waitcnt vmcnt(2)
	v_add_f64 v[18:19], v[6:7], v[10:11]
	s_waitcnt vmcnt(1)
	v_add_f64 v[18:19], v[18:19], v[14:15]
	v_div_scale_f64 v[20:21], s[0:1], s[2:3], s[2:3], v[18:19]
	v_rcp_f64_e32 v[22:23], v[20:21]
	global_store_dwordx2 v[2:3], v[18:19], off
	v_div_scale_f64 v[24:25], vcc, v[18:19], s[2:3], v[18:19]
	v_fma_f64 v[2:3], -v[20:21], v[22:23], 1.0
	v_fmac_f64_e32 v[22:23], v[22:23], v[2:3]
	v_fma_f64 v[2:3], -v[20:21], v[22:23], 1.0
	v_fmac_f64_e32 v[22:23], v[22:23], v[2:3]
	v_mul_f64 v[2:3], v[24:25], v[22:23]
	v_fma_f64 v[20:21], -v[20:21], v[2:3], v[24:25]
	v_div_fmas_f64 v[2:3], v[20:21], v[22:23], v[2:3]
	v_div_fixup_f64 v[2:3], v[2:3], s[2:3], v[18:19]
	v_add_f64 v[6:7], v[6:7], -v[2:3]
	s_waitcnt vmcnt(1)
	v_cmp_ge_f64_e32 vcc, 0, v[16:17]
	v_add_f64 v[10:11], v[10:11], -v[2:3]
	v_add_f64 v[2:3], v[14:15], -v[2:3]
	global_store_dwordx2 v[4:5], v[6:7], off
	global_store_dwordx2 v[8:9], v[10:11], off
	;; [unrolled: 1-line block ×3, first 2 shown]
	s_and_b64 exec, exec, vcc
	s_cbranch_execz .LBB11_3
; %bb.2:
	s_load_dwordx2 s[0:1], s[4:5], 0x28
	v_mov_b32_e32 v1, 0
	s_waitcnt lgkmcnt(0)
	global_store_dword v1, v0, s[0:1]
.LBB11_3:
	s_endpgm
	.section	.rodata,"a",@progbits
	.p2align	6, 0x0
	.amdhsa_kernel _Z15calcStrainRatesPdS_S_PKdS_Pii
		.amdhsa_group_segment_fixed_size 0
		.amdhsa_private_segment_fixed_size 0
		.amdhsa_kernarg_size 312
		.amdhsa_user_sgpr_count 6
		.amdhsa_user_sgpr_private_segment_buffer 1
		.amdhsa_user_sgpr_dispatch_ptr 0
		.amdhsa_user_sgpr_queue_ptr 0
		.amdhsa_user_sgpr_kernarg_segment_ptr 1
		.amdhsa_user_sgpr_dispatch_id 0
		.amdhsa_user_sgpr_flat_scratch_init 0
		.amdhsa_user_sgpr_kernarg_preload_length 0
		.amdhsa_user_sgpr_kernarg_preload_offset 0
		.amdhsa_user_sgpr_private_segment_size 0
		.amdhsa_uses_dynamic_stack 0
		.amdhsa_system_sgpr_private_segment_wavefront_offset 0
		.amdhsa_system_sgpr_workgroup_id_x 1
		.amdhsa_system_sgpr_workgroup_id_y 0
		.amdhsa_system_sgpr_workgroup_id_z 0
		.amdhsa_system_sgpr_workgroup_info 0
		.amdhsa_system_vgpr_workitem_id 0
		.amdhsa_next_free_vgpr 26
		.amdhsa_next_free_sgpr 16
		.amdhsa_accum_offset 28
		.amdhsa_reserve_vcc 1
		.amdhsa_reserve_flat_scratch 0
		.amdhsa_float_round_mode_32 0
		.amdhsa_float_round_mode_16_64 0
		.amdhsa_float_denorm_mode_32 3
		.amdhsa_float_denorm_mode_16_64 3
		.amdhsa_dx10_clamp 1
		.amdhsa_ieee_mode 1
		.amdhsa_fp16_overflow 0
		.amdhsa_tg_split 0
		.amdhsa_exception_fp_ieee_invalid_op 0
		.amdhsa_exception_fp_denorm_src 0
		.amdhsa_exception_fp_ieee_div_zero 0
		.amdhsa_exception_fp_ieee_overflow 0
		.amdhsa_exception_fp_ieee_underflow 0
		.amdhsa_exception_fp_ieee_inexact 0
		.amdhsa_exception_int_div_zero 0
	.end_amdhsa_kernel
	.text
.Lfunc_end11:
	.size	_Z15calcStrainRatesPdS_S_PKdS_Pii, .Lfunc_end11-_Z15calcStrainRatesPdS_S_PKdS_Pii
                                        ; -- End function
	.section	.AMDGPU.csdata,"",@progbits
; Kernel info:
; codeLenInByte = 384
; NumSgprs: 20
; NumVgprs: 26
; NumAgprs: 0
; TotalNumVgprs: 26
; ScratchSize: 0
; MemoryBound: 0
; FloatMode: 240
; IeeeMode: 1
; LDSByteSize: 0 bytes/workgroup (compile time only)
; SGPRBlocks: 2
; VGPRBlocks: 3
; NumSGPRsForWavesPerEU: 20
; NumVGPRsForWavesPerEU: 26
; AccumOffset: 28
; Occupancy: 8
; WaveLimiterHint : 0
; COMPUTE_PGM_RSRC2:SCRATCH_EN: 0
; COMPUTE_PGM_RSRC2:USER_SGPR: 6
; COMPUTE_PGM_RSRC2:TRAP_HANDLER: 0
; COMPUTE_PGM_RSRC2:TGID_X_EN: 1
; COMPUTE_PGM_RSRC2:TGID_Y_EN: 0
; COMPUTE_PGM_RSRC2:TGID_Z_EN: 0
; COMPUTE_PGM_RSRC2:TIDIG_COMP_CNT: 0
; COMPUTE_PGM_RSRC3_GFX90A:ACCUM_OFFSET: 6
; COMPUTE_PGM_RSRC3_GFX90A:TG_SPLIT: 0
	.text
	.protected	_Z31calcMonotonicQGradientsForElemsPKdS0_S0_S0_S0_S0_PKiS0_PdS3_S3_S3_S3_S3_S0_i ; -- Begin function _Z31calcMonotonicQGradientsForElemsPKdS0_S0_S0_S0_S0_PKiS0_PdS3_S3_S3_S3_S3_S0_i
	.globl	_Z31calcMonotonicQGradientsForElemsPKdS0_S0_S0_S0_S0_PKiS0_PdS3_S3_S3_S3_S3_S0_i
	.p2align	8
	.type	_Z31calcMonotonicQGradientsForElemsPKdS0_S0_S0_S0_S0_PKiS0_PdS3_S3_S3_S3_S3_S0_i,@function
_Z31calcMonotonicQGradientsForElemsPKdS0_S0_S0_S0_S0_PKiS0_PdS3_S3_S3_S3_S3_S0_i: ; @_Z31calcMonotonicQGradientsForElemsPKdS0_S0_S0_S0_S0_PKiS0_PdS3_S3_S3_S3_S3_S0_i
; %bb.0:
	s_load_dword s0, s[4:5], 0x8c
	s_load_dword s1, s[4:5], 0x78
	s_waitcnt lgkmcnt(0)
	s_and_b32 s0, s0, 0xffff
	s_mul_i32 s6, s6, s0
	v_add_u32_e32 v8, s6, v0
	v_cmp_gt_i32_e32 vcc, s1, v8
	s_and_saveexec_b64 s[0:1], vcc
	s_cbranch_execz .LBB12_2
; %bb.1:
	s_load_dwordx8 s[16:23], s[4:5], 0x20
	v_lshlrev_b32_e32 v0, 3, v8
	v_ashrrev_i32_e32 v1, 31, v0
	v_lshlrev_b64 v[0:1], 2, v[0:1]
	v_ashrrev_i32_e32 v9, 31, v8
	s_waitcnt lgkmcnt(0)
	v_mov_b32_e32 v2, s21
	v_add_co_u32_e32 v10, vcc, s20, v0
	v_addc_co_u32_e32 v11, vcc, v2, v1, vcc
	global_load_dwordx4 v[4:7], v[10:11], off
	global_load_dwordx4 v[0:3], v[10:11], off offset:16
	s_load_dwordx2 s[0:1], s[4:5], 0x70
	s_load_dwordx4 s[24:27], s[4:5], 0x60
	v_lshlrev_b64 v[8:9], 3, v[8:9]
	s_load_dwordx8 s[8:15], s[4:5], 0x0
	v_mov_b32_e32 v11, s23
	v_add_co_u32_e32 v10, vcc, s22, v8
	v_addc_co_u32_e32 v11, vcc, v11, v9, vcc
	s_waitcnt lgkmcnt(0)
	v_mov_b32_e32 v12, s1
	v_add_co_u32_e32 v16, vcc, s0, v8
	v_addc_co_u32_e32 v17, vcc, v12, v9, vcc
	global_load_dwordx2 v[12:13], v[10:11], off
	global_load_dwordx2 v[14:15], v[16:17], off
	v_mov_b32_e32 v24, s15
	v_mov_b32_e32 v118, 0xffffff80
	;; [unrolled: 1-line block ×3, first 2 shown]
	s_waitcnt vmcnt(3)
	v_ashrrev_i32_e32 v11, 31, v4
	v_mov_b32_e32 v10, v4
	v_ashrrev_i32_e32 v17, 31, v5
	v_mov_b32_e32 v16, v5
	;; [unrolled: 2-line block ×4, first 2 shown]
	s_waitcnt vmcnt(2)
	v_ashrrev_i32_e32 v7, 31, v0
	v_mov_b32_e32 v6, v0
	v_ashrrev_i32_e32 v21, 31, v1
	v_mov_b32_e32 v20, v1
	;; [unrolled: 2-line block ×3, first 2 shown]
	v_lshlrev_b64 v[54:55], 3, v[10:11]
	v_lshlrev_b64 v[36:37], 3, v[0:1]
	v_add_co_u32_e32 v0, vcc, s14, v54
	v_lshlrev_b64 v[52:53], 3, v[16:17]
	v_addc_co_u32_e32 v1, vcc, v24, v55, vcc
	v_add_co_u32_e32 v2, vcc, s14, v52
	v_ashrrev_i32_e32 v23, 31, v3
	v_mov_b32_e32 v22, v3
	v_lshlrev_b64 v[44:45], 3, v[4:5]
	v_addc_co_u32_e32 v3, vcc, v24, v53, vcc
	v_add_co_u32_e32 v4, vcc, s14, v44
	v_lshlrev_b64 v[42:43], 3, v[18:19]
	v_addc_co_u32_e32 v5, vcc, v24, v45, vcc
	v_add_co_u32_e32 v16, vcc, s14, v42
	;; [unrolled: 3-line block ×4, first 2 shown]
	v_addc_co_u32_e32 v21, vcc, v24, v39, vcc
	v_add_co_u32_e32 v30, vcc, s14, v36
	v_lshlrev_b64 v[34:35], 3, v[22:23]
	v_addc_co_u32_e32 v31, vcc, v24, v37, vcc
	v_add_co_u32_e32 v32, vcc, s14, v34
	v_addc_co_u32_e32 v33, vcc, v24, v35, vcc
	global_load_dwordx2 v[46:47], v[0:1], off
	global_load_dwordx2 v[48:49], v[2:3], off
	;; [unrolled: 1-line block ×8, first 2 shown]
	v_mov_b32_e32 v33, s17
	v_add_co_u32_e32 v0, vcc, s16, v54
	v_addc_co_u32_e32 v1, vcc, v33, v55, vcc
	v_add_co_u32_e32 v2, vcc, s16, v52
	v_addc_co_u32_e32 v3, vcc, v33, v53, vcc
	;; [unrolled: 2-line block ×8, first 2 shown]
	global_load_dwordx2 v[58:59], v[16:17], off
	global_load_dwordx2 v[50:51], v[0:1], off
	;; [unrolled: 1-line block ×5, first 2 shown]
                                        ; kill: killed $vgpr16 killed $vgpr17
                                        ; kill: killed $vgpr4 killed $vgpr5
                                        ; kill: killed $vgpr2 killed $vgpr3
                                        ; kill: killed $vgpr32 killed $vgpr33
                                        ; kill: killed $vgpr0 killed $vgpr1
	global_load_dwordx2 v[68:69], v[30:31], off
	global_load_dwordx2 v[70:71], v[20:21], off
	global_load_dwordx2 v[72:73], v[18:19], off
	v_mov_b32_e32 v33, s19
	v_add_co_u32_e32 v0, vcc, s18, v54
	v_addc_co_u32_e32 v1, vcc, v33, v55, vcc
	v_add_co_u32_e32 v2, vcc, s18, v52
	v_addc_co_u32_e32 v3, vcc, v33, v53, vcc
	;; [unrolled: 2-line block ×8, first 2 shown]
	global_load_dwordx2 v[0:1], v[0:1], off
	s_nop 0
	global_load_dwordx2 v[2:3], v[2:3], off
	s_nop 0
	global_load_dwordx2 v[82:83], v[18:19], off
	global_load_dwordx2 v[84:85], v[20:21], off
	;; [unrolled: 1-line block ×6, first 2 shown]
	s_mov_b32 s14, 0x932d2e72
	s_mov_b32 s15, 0x38754484
	s_waitcnt vmcnt(24)
	v_fma_f64 v[74:75], v[12:13], v[14:15], s[14:15]
	v_div_scale_f64 v[16:17], s[0:1], v[74:75], v[74:75], 1.0
	v_rcp_f64_e32 v[20:21], v[16:17]
	s_waitcnt vmcnt(22)
	v_add_f64 v[90:91], v[46:47], v[48:49]
	s_waitcnt vmcnt(21)
	v_add_f64 v[48:49], v[48:49], v[6:7]
	;; [unrolled: 2-line block ×3, first 2 shown]
	v_fma_f64 v[4:5], -v[16:17], v[20:21], 1.0
	v_fmac_f64_e32 v[20:21], v[20:21], v[4:5]
	v_add_f64 v[4:5], v[6:7], v[10:11]
	s_waitcnt vmcnt(18)
	v_add_f64 v[18:19], v[90:91], v[24:25]
	s_waitcnt vmcnt(17)
	v_add_f64 v[4:5], v[4:5], v[26:27]
	v_add_f64 v[18:19], v[22:23], v[18:19]
	s_waitcnt vmcnt(16)
	v_add_f64 v[4:5], v[4:5], v[28:29]
	v_add_f64 v[4:5], v[18:19], -v[4:5]
	v_add_f64 v[48:49], v[48:49], v[26:27]
	v_add_f64 v[46:47], v[46:47], v[28:29]
	;; [unrolled: 1-line block ×4, first 2 shown]
	v_add_f64 v[46:47], v[48:49], -v[46:47]
	v_ldexp_f64 v[96:97], -v[4:5], -2
	s_mov_b32 s16, 0
	s_brev_b32 s17, 8
	v_div_scale_f64 v[30:31], vcc, 1.0, v[74:75], 1.0
	v_add_f64 v[22:23], v[22:23], v[24:25]
	v_add_f64 v[22:23], v[22:23], v[26:27]
	v_add_f64 v[6:7], v[90:91], v[6:7]
	v_add_f64 v[22:23], v[22:23], v[28:29]
	v_add_f64 v[6:7], v[6:7], v[10:11]
	v_add_f64 v[6:7], v[22:23], -v[6:7]
	v_ldexp_f64 v[6:7], v[6:7], -2
	s_waitcnt vmcnt(13)
	v_add_f64 v[18:19], v[64:65], v[58:59]
	s_waitcnt vmcnt(12)
	v_add_f64 v[94:95], v[50:51], v[56:57]
	v_add_f64 v[48:49], v[56:57], v[64:65]
	;; [unrolled: 1-line block ×3, first 2 shown]
	s_waitcnt vmcnt(11)
	v_add_f64 v[50:51], v[50:51], v[66:67]
	v_mov_b32_e32 v56, s11
	v_add_f64 v[22:23], v[94:95], v[64:65]
	v_add_f64 v[22:23], v[22:23], v[58:59]
	s_waitcnt vmcnt(10)
	v_add_f64 v[18:19], v[18:19], v[68:69]
	s_waitcnt vmcnt(9)
	;; [unrolled: 2-line block ×3, first 2 shown]
	v_add_f64 v[32:33], v[72:73], v[32:33]
	v_add_f64 v[18:19], v[18:19], v[66:67]
	v_add_f64 v[18:19], v[32:33], -v[18:19]
	v_add_f64 v[48:49], v[48:49], v[68:69]
	v_add_f64 v[48:49], v[70:71], v[48:49]
	;; [unrolled: 1-line block ×3, first 2 shown]
	v_add_f64 v[48:49], v[48:49], -v[50:51]
	v_ldexp_f64 v[98:99], -v[18:19], -2
	v_ldexp_f64 v[4:5], v[48:49], -2
	v_add_f64 v[10:11], v[72:73], v[70:71]
	v_add_f64 v[10:11], v[10:11], v[68:69]
	v_add_f64 v[10:11], v[10:11], v[66:67]
	v_add_f64 v[10:11], v[10:11], -v[22:23]
	v_ldexp_f64 v[10:11], v[10:11], -2
	v_mul_f64 v[28:29], v[6:7], v[98:99]
	v_fma_f64 v[28:29], v[96:97], v[10:11], -v[28:29]
	s_waitcnt vmcnt(6)
	v_add_f64 v[92:93], v[0:1], v[2:3]
	s_waitcnt vmcnt(4)
	v_add_f64 v[32:33], v[92:93], v[84:85]
	;; [unrolled: 2-line block ×4, first 2 shown]
	v_add_f64 v[60:61], v[78:79], v[80:81]
	s_waitcnt vmcnt(1)
	v_add_f64 v[2:3], v[2:3], v[86:87]
	s_waitcnt vmcnt(0)
	v_add_f64 v[0:1], v[0:1], v[88:89]
	v_add_f64 v[60:61], v[60:61], v[86:87]
	;; [unrolled: 1-line block ×6, first 2 shown]
	v_add_f64 v[0:1], v[2:3], -v[0:1]
	v_add_f64 v[32:33], v[32:33], -v[60:61]
	v_ldexp_f64 v[18:19], v[0:1], -2
	v_ldexp_f64 v[100:101], -v[32:33], -2
	v_ldexp_f64 v[2:3], v[46:47], -2
	v_mul_f64 v[0:1], v[98:99], v[18:19]
	v_fma_f64 v[112:113], v[4:5], v[100:101], -v[0:1]
	v_mul_f64 v[0:1], v[2:3], v[100:101]
	v_fma_f64 v[114:115], v[96:97], v[18:19], -v[0:1]
	;; [unrolled: 2-line block ×3, first 2 shown]
	v_mul_f64 v[0:1], v[114:115], v[114:115]
	v_fmac_f64_e32 v[0:1], v[112:113], v[112:113]
	v_fmac_f64_e32 v[0:1], v[106:107], v[106:107]
	v_add_f64 v[0:1], v[0:1], s[14:15]
	v_cmp_gt_f64_e64 s[0:1], s[16:17], v[0:1]
	v_cndmask_b32_e64 v32, 0, 1, s[0:1]
	v_lshlrev_b32_e32 v32, 8, v32
	v_ldexp_f64 v[0:1], v[0:1], v32
	v_rsq_f64_e32 v[32:33], v[0:1]
	v_fma_f64 v[46:47], -v[16:17], v[20:21], 1.0
	v_fmac_f64_e32 v[20:21], v[20:21], v[46:47]
	v_mul_f64 v[46:47], v[30:31], v[20:21]
	v_mul_f64 v[48:49], v[0:1], v[32:33]
	v_mul_f64 v[32:33], v[32:33], 0.5
	v_fma_f64 v[50:51], -v[32:33], v[48:49], 0.5
	v_fmac_f64_e32 v[48:49], v[48:49], v[50:51]
	v_fmac_f64_e32 v[32:33], v[32:33], v[50:51]
	v_fma_f64 v[50:51], -v[48:49], v[48:49], v[0:1]
	v_fmac_f64_e32 v[48:49], v[50:51], v[32:33]
	v_fma_f64 v[50:51], -v[48:49], v[48:49], v[0:1]
	v_fmac_f64_e32 v[48:49], v[50:51], v[32:33]
	v_cndmask_b32_e64 v32, 0, v118, s[0:1]
	v_ldexp_f64 v[32:33], v[48:49], v32
	v_cmp_class_f64_e64 s[0:1], v[0:1], v119
	v_cndmask_b32_e64 v77, v33, v1, s[0:1]
	v_cndmask_b32_e64 v76, v32, v0, s[0:1]
	v_mul_f64 v[0:1], v[12:13], v[14:15]
	v_div_scale_f64 v[12:13], s[0:1], v[76:77], v[76:77], v[0:1]
	v_rcp_f64_e32 v[14:15], v[12:13]
	v_fma_f64 v[16:17], -v[16:17], v[46:47], v[30:31]
	v_div_fmas_f64 v[116:117], v[16:17], v[20:21], v[46:47]
	s_load_dwordx8 s[0:7], s[4:5], 0x40
	v_fma_f64 v[16:17], -v[12:13], v[14:15], 1.0
	v_fmac_f64_e32 v[14:15], v[14:15], v[16:17]
	v_fma_f64 v[16:17], -v[12:13], v[14:15], 1.0
	v_fmac_f64_e32 v[14:15], v[14:15], v[16:17]
	v_div_scale_f64 v[16:17], vcc, v[0:1], v[76:77], v[0:1]
	v_mul_f64 v[20:21], v[16:17], v[14:15]
	v_fma_f64 v[12:13], -v[12:13], v[20:21], v[16:17]
	v_div_fixup_f64 v[74:75], v[116:117], v[74:75], 1.0
	s_nop 0
	v_div_fmas_f64 v[120:121], v[12:13], v[14:15], v[20:21]
	v_mov_b32_e32 v20, s9
	v_add_co_u32_e32 v30, vcc, s8, v54
	v_addc_co_u32_e32 v31, vcc, v20, v55, vcc
	v_add_co_u32_e32 v32, vcc, s8, v52
	v_addc_co_u32_e32 v33, vcc, v20, v53, vcc
	;; [unrolled: 2-line block ×8, first 2 shown]
	global_load_dwordx2 v[12:13], v[12:13], off
	s_nop 0
	global_load_dwordx2 v[20:21], v[14:15], off
	s_nop 0
	;; [unrolled: 2-line block ×3, first 2 shown]
	global_load_dwordx2 v[16:17], v[50:51], off
	global_load_dwordx2 v[102:103], v[30:31], off
	;; [unrolled: 1-line block ×3, first 2 shown]
	s_nop 0
	global_load_dwordx2 v[30:31], v[46:47], off
	global_load_dwordx2 v[32:33], v[48:49], off
	v_add_co_u32_e32 v60, vcc, s10, v54
	v_addc_co_u32_e32 v61, vcc, v56, v55, vcc
	v_add_co_u32_e32 v62, vcc, s10, v52
	v_addc_co_u32_e32 v63, vcc, v56, v53, vcc
	;; [unrolled: 2-line block ×8, first 2 shown]
	global_load_dwordx2 v[46:47], v[46:47], off
	s_nop 0
	global_load_dwordx2 v[56:57], v[48:49], off
	s_nop 0
	;; [unrolled: 2-line block ×4, first 2 shown]
	global_load_dwordx2 v[108:109], v[60:61], off
	global_load_dwordx2 v[110:111], v[62:63], off
	s_nop 0
	global_load_dwordx2 v[60:61], v[122:123], off
	global_load_dwordx2 v[62:63], v[124:125], off
	v_div_fixup_f64 v[76:77], v[120:121], v[76:77], v[0:1]
	s_waitcnt lgkmcnt(0)
	v_mov_b32_e32 v121, s7
	v_add_co_u32_e32 v120, vcc, s6, v8
	v_addc_co_u32_e32 v121, vcc, v121, v9, vcc
	global_store_dwordx2 v[120:121], v[76:77], off
	v_add_co_u32_e32 v54, vcc, s12, v54
	v_add_f64 v[22:23], v[82:83], v[84:85]
	v_add_f64 v[22:23], v[22:23], v[86:87]
	v_add_f64 v[24:25], v[92:93], v[78:79]
	v_add_f64 v[22:23], v[22:23], v[88:89]
	v_add_f64 v[24:25], v[24:25], v[80:81]
	v_add_f64 v[22:23], v[22:23], -v[24:25]
	v_ldexp_f64 v[22:23], v[22:23], -2
	v_mul_f64 v[24:25], v[96:97], v[22:23]
	v_fma_f64 v[24:25], v[6:7], v[100:101], -v[24:25]
	v_mul_f64 v[26:27], v[10:11], v[100:101]
	v_fma_f64 v[26:27], v[98:99], v[22:23], -v[26:27]
	v_mul_f64 v[58:59], v[24:25], v[24:25]
	v_fmac_f64_e32 v[58:59], v[26:27], v[26:27]
	v_fmac_f64_e32 v[58:59], v[28:29], v[28:29]
	v_add_f64 v[58:59], v[58:59], s[14:15]
	v_mul_f64 v[106:107], v[106:107], v[74:75]
	v_mov_b32_e32 v70, s5
	v_mul_f64 v[24:25], v[24:25], v[74:75]
	v_mul_f64 v[26:27], v[26:27], v[74:75]
	;; [unrolled: 1-line block ×3, first 2 shown]
	s_waitcnt vmcnt(15)
	v_add_f64 v[76:77], v[12:13], v[20:21]
	s_waitcnt vmcnt(14)
	v_add_f64 v[76:77], v[76:77], v[14:15]
	;; [unrolled: 2-line block ×6, first 2 shown]
	v_add_f64 v[120:121], v[116:117], -v[120:121]
	v_mov_b32_e32 v117, s13
	v_addc_co_u32_e32 v55, vcc, v117, v55, vcc
	v_add_co_u32_e32 v52, vcc, s12, v52
	v_addc_co_u32_e32 v53, vcc, v117, v53, vcc
	v_add_co_u32_e32 v44, vcc, s12, v44
	;; [unrolled: 2-line block ×7, first 2 shown]
	v_addc_co_u32_e32 v117, vcc, v117, v35, vcc
	s_waitcnt vmcnt(7)
	v_add_f64 v[34:35], v[46:47], v[56:57]
	s_waitcnt vmcnt(3)
	v_add_f64 v[42:43], v[108:109], v[110:111]
	v_add_f64 v[34:35], v[34:35], v[48:49]
	s_waitcnt vmcnt(2)
	v_add_f64 v[124:125], v[42:43], v[60:61]
	;; [unrolled: 3-line block ×3, first 2 shown]
	v_add_f64 v[124:125], v[34:35], -v[124:125]
	global_load_dwordx2 v[34:35], v[40:41], off
	s_nop 0
	global_load_dwordx2 v[40:41], v[38:39], off
	s_nop 0
	;; [unrolled: 2-line block ×4, first 2 shown]
	global_load_dwordx2 v[116:117], v[54:55], off
	global_load_dwordx2 v[126:127], v[52:53], off
	s_nop 0
	global_load_dwordx2 v[44:45], v[44:45], off
	s_nop 0
	global_load_dwordx2 v[52:53], v[122:123], off
	v_mul_f64 v[54:55], v[114:115], v[74:75]
	v_ldexp_f64 v[114:115], v[124:125], -2
	v_mul_f64 v[114:115], v[114:115], v[54:55]
	v_mul_f64 v[54:55], v[112:113], v[74:75]
	v_ldexp_f64 v[112:113], v[120:121], -2
	v_cmp_gt_f64_e32 vcc, s[16:17], v[58:59]
	v_fmac_f64_e32 v[114:115], v[112:113], v[54:55]
	v_cndmask_b32_e64 v64, 0, 1, vcc
	v_lshlrev_b32_e32 v64, 8, v64
	v_ldexp_f64 v[58:59], v[58:59], v64
	v_rsq_f64_e32 v[64:65], v[58:59]
	s_waitcnt vmcnt(6)
	v_add_f64 v[54:55], v[34:35], v[40:41]
	s_waitcnt vmcnt(5)
	v_add_f64 v[54:55], v[54:55], v[36:37]
	;; [unrolled: 2-line block ×6, first 2 shown]
	v_add_f64 v[112:113], v[112:113], -v[120:121]
	v_ldexp_f64 v[66:67], v[112:113], -2
	v_fmac_f64_e32 v[114:115], v[66:67], v[106:107]
	v_mul_f64 v[66:67], v[58:59], v[64:65]
	v_mul_f64 v[64:65], v[64:65], 0.5
	v_fma_f64 v[68:69], -v[64:65], v[66:67], 0.5
	v_fmac_f64_e32 v[66:67], v[66:67], v[68:69]
	v_fmac_f64_e32 v[64:65], v[64:65], v[68:69]
	v_fma_f64 v[68:69], -v[66:67], v[66:67], v[58:59]
	v_fmac_f64_e32 v[66:67], v[68:69], v[64:65]
	v_fma_f64 v[68:69], -v[66:67], v[66:67], v[58:59]
	v_fmac_f64_e32 v[66:67], v[68:69], v[64:65]
	v_cndmask_b32_e32 v64, 0, v118, vcc
	v_ldexp_f64 v[64:65], v[66:67], v64
	v_cmp_class_f64_e32 vcc, v[58:59], v119
	v_cndmask_b32_e32 v59, v65, v59, vcc
	v_cndmask_b32_e32 v58, v64, v58, vcc
	v_div_scale_f64 v[64:65], s[6:7], v[58:59], v[58:59], v[0:1]
	v_rcp_f64_e32 v[66:67], v[64:65]
	v_add_co_u32_e32 v68, vcc, s4, v8
	v_addc_co_u32_e32 v69, vcc, v70, v9, vcc
	global_store_dwordx2 v[68:69], v[114:115], off
	v_fma_f64 v[68:69], -v[64:65], v[66:67], 1.0
	v_fmac_f64_e32 v[66:67], v[66:67], v[68:69]
	v_fma_f64 v[68:69], -v[64:65], v[66:67], 1.0
	v_fmac_f64_e32 v[66:67], v[66:67], v[68:69]
	v_div_scale_f64 v[68:69], vcc, v[0:1], v[58:59], v[0:1]
	v_mul_f64 v[70:71], v[68:69], v[66:67]
	v_fma_f64 v[64:65], -v[64:65], v[70:71], v[68:69]
	s_nop 1
	v_div_fmas_f64 v[64:65], v[64:65], v[66:67], v[70:71]
	v_div_fixup_f64 v[58:59], v[64:65], v[58:59], v[0:1]
	v_mov_b32_e32 v65, s27
	v_add_co_u32_e32 v64, vcc, s26, v8
	v_addc_co_u32_e32 v65, vcc, v65, v9, vcc
	global_store_dwordx2 v[64:65], v[58:59], off
	v_add_f64 v[58:59], v[104:105], v[30:31]
	v_add_f64 v[64:65], v[102:103], v[32:33]
	;; [unrolled: 1-line block ×6, first 2 shown]
	v_add_f64 v[58:59], v[58:59], -v[64:65]
	v_add_f64 v[64:65], v[110:111], v[60:61]
	v_add_f64 v[66:67], v[108:109], v[62:63]
	;; [unrolled: 1-line block ×6, first 2 shown]
	v_add_f64 v[64:65], v[64:65], -v[66:67]
	v_ldexp_f64 v[64:65], v[64:65], -2
	v_mul_f64 v[24:25], v[64:65], v[24:25]
	v_ldexp_f64 v[58:59], v[58:59], -2
	v_fmac_f64_e32 v[24:25], v[58:59], v[26:27]
	v_add_f64 v[26:27], v[126:127], v[44:45]
	v_add_f64 v[58:59], v[116:117], v[52:53]
	;; [unrolled: 1-line block ×6, first 2 shown]
	v_add_f64 v[26:27], v[26:27], -v[58:59]
	v_mul_f64 v[58:59], v[4:5], v[22:23]
	v_fma_f64 v[58:59], v[10:11], v[18:19], -v[58:59]
	v_mul_f64 v[18:19], v[6:7], v[18:19]
	v_fma_f64 v[18:19], v[2:3], v[22:23], -v[18:19]
	;; [unrolled: 2-line block ×3, first 2 shown]
	v_mul_f64 v[4:5], v[18:19], v[18:19]
	v_fmac_f64_e32 v[4:5], v[58:59], v[58:59]
	v_fmac_f64_e32 v[4:5], v[2:3], v[2:3]
	v_add_f64 v[4:5], v[4:5], s[14:15]
	v_cmp_gt_f64_e32 vcc, s[16:17], v[4:5]
	v_cndmask_b32_e64 v6, 0, 1, vcc
	v_lshlrev_b32_e32 v6, 8, v6
	v_ldexp_f64 v[4:5], v[4:5], v6
	v_rsq_f64_e32 v[6:7], v[4:5]
	v_ldexp_f64 v[10:11], v[26:27], -2
	v_fmac_f64_e32 v[24:25], v[10:11], v[28:29]
	v_mov_b32_e32 v26, s25
	v_mul_f64 v[10:11], v[4:5], v[6:7]
	v_mul_f64 v[6:7], v[6:7], 0.5
	v_fma_f64 v[22:23], -v[6:7], v[10:11], 0.5
	v_fmac_f64_e32 v[10:11], v[10:11], v[22:23]
	v_fmac_f64_e32 v[6:7], v[6:7], v[22:23]
	v_fma_f64 v[22:23], -v[10:11], v[10:11], v[4:5]
	v_fmac_f64_e32 v[10:11], v[22:23], v[6:7]
	v_fma_f64 v[22:23], -v[10:11], v[10:11], v[4:5]
	v_fmac_f64_e32 v[10:11], v[22:23], v[6:7]
	v_cndmask_b32_e32 v6, 0, v118, vcc
	v_ldexp_f64 v[6:7], v[10:11], v6
	v_cmp_class_f64_e32 vcc, v[4:5], v119
	v_cndmask_b32_e32 v5, v7, v5, vcc
	v_cndmask_b32_e32 v4, v6, v4, vcc
	v_div_scale_f64 v[6:7], s[4:5], v[4:5], v[4:5], v[0:1]
	v_rcp_f64_e32 v[10:11], v[6:7]
	v_add_co_u32_e32 v22, vcc, s24, v8
	v_addc_co_u32_e32 v23, vcc, v26, v9, vcc
	global_store_dwordx2 v[22:23], v[24:25], off
	v_fma_f64 v[22:23], -v[6:7], v[10:11], 1.0
	v_fmac_f64_e32 v[10:11], v[10:11], v[22:23]
	v_fma_f64 v[22:23], -v[6:7], v[10:11], 1.0
	v_fmac_f64_e32 v[10:11], v[10:11], v[22:23]
	v_div_scale_f64 v[22:23], vcc, v[0:1], v[4:5], v[0:1]
	v_mul_f64 v[24:25], v[22:23], v[10:11]
	v_fma_f64 v[6:7], -v[6:7], v[24:25], v[22:23]
	v_mul_f64 v[2:3], v[2:3], v[74:75]
	s_nop 0
	v_div_fmas_f64 v[6:7], v[6:7], v[10:11], v[24:25]
	v_add_f64 v[10:11], v[30:31], v[32:33]
	v_div_fixup_f64 v[0:1], v[6:7], v[4:5], v[0:1]
	v_add_f64 v[6:7], v[76:77], v[20:21]
	v_add_f64 v[10:11], v[10:11], v[14:15]
	;; [unrolled: 1-line block ×5, first 2 shown]
	v_add_f64 v[6:7], v[6:7], -v[10:11]
	v_add_f64 v[10:11], v[42:43], v[56:57]
	v_add_f64 v[12:13], v[12:13], v[48:49]
	v_mov_b32_e32 v5, s3
	v_add_co_u32_e32 v4, vcc, s2, v8
	v_add_f64 v[10:11], v[46:47], v[10:11]
	v_add_f64 v[12:13], v[12:13], v[50:51]
	;; [unrolled: 1-line block ×3, first 2 shown]
	v_addc_co_u32_e32 v5, vcc, v5, v9, vcc
	v_add_f64 v[10:11], v[10:11], -v[12:13]
	v_add_f64 v[12:13], v[54:55], v[40:41]
	v_add_f64 v[14:15], v[14:15], v[36:37]
	global_store_dwordx2 v[4:5], v[0:1], off
	v_mul_f64 v[4:5], v[18:19], v[74:75]
	v_ldexp_f64 v[10:11], -v[10:11], -2
	v_add_f64 v[12:13], v[34:35], v[12:13]
	v_add_f64 v[14:15], v[14:15], v[38:39]
	v_mul_f64 v[0:1], v[58:59], v[74:75]
	v_ldexp_f64 v[6:7], -v[6:7], -2
	v_add_f64 v[12:13], v[12:13], -v[14:15]
	v_mul_f64 v[4:5], v[10:11], v[4:5]
	v_ldexp_f64 v[12:13], -v[12:13], -2
	v_fmac_f64_e32 v[4:5], v[6:7], v[0:1]
	v_mov_b32_e32 v1, s1
	v_add_co_u32_e32 v0, vcc, s0, v8
	v_fmac_f64_e32 v[4:5], v[12:13], v[2:3]
	v_addc_co_u32_e32 v1, vcc, v1, v9, vcc
	global_store_dwordx2 v[0:1], v[4:5], off
.LBB12_2:
	s_endpgm
	.section	.rodata,"a",@progbits
	.p2align	6, 0x0
	.amdhsa_kernel _Z31calcMonotonicQGradientsForElemsPKdS0_S0_S0_S0_S0_PKiS0_PdS3_S3_S3_S3_S3_S0_i
		.amdhsa_group_segment_fixed_size 0
		.amdhsa_private_segment_fixed_size 0
		.amdhsa_kernarg_size 384
		.amdhsa_user_sgpr_count 6
		.amdhsa_user_sgpr_private_segment_buffer 1
		.amdhsa_user_sgpr_dispatch_ptr 0
		.amdhsa_user_sgpr_queue_ptr 0
		.amdhsa_user_sgpr_kernarg_segment_ptr 1
		.amdhsa_user_sgpr_dispatch_id 0
		.amdhsa_user_sgpr_flat_scratch_init 0
		.amdhsa_user_sgpr_kernarg_preload_length 0
		.amdhsa_user_sgpr_kernarg_preload_offset 0
		.amdhsa_user_sgpr_private_segment_size 0
		.amdhsa_uses_dynamic_stack 0
		.amdhsa_system_sgpr_private_segment_wavefront_offset 0
		.amdhsa_system_sgpr_workgroup_id_x 1
		.amdhsa_system_sgpr_workgroup_id_y 0
		.amdhsa_system_sgpr_workgroup_id_z 0
		.amdhsa_system_sgpr_workgroup_info 0
		.amdhsa_system_vgpr_workitem_id 0
		.amdhsa_next_free_vgpr 128
		.amdhsa_next_free_sgpr 28
		.amdhsa_accum_offset 128
		.amdhsa_reserve_vcc 1
		.amdhsa_reserve_flat_scratch 0
		.amdhsa_float_round_mode_32 0
		.amdhsa_float_round_mode_16_64 0
		.amdhsa_float_denorm_mode_32 3
		.amdhsa_float_denorm_mode_16_64 3
		.amdhsa_dx10_clamp 1
		.amdhsa_ieee_mode 1
		.amdhsa_fp16_overflow 0
		.amdhsa_tg_split 0
		.amdhsa_exception_fp_ieee_invalid_op 0
		.amdhsa_exception_fp_denorm_src 0
		.amdhsa_exception_fp_ieee_div_zero 0
		.amdhsa_exception_fp_ieee_overflow 0
		.amdhsa_exception_fp_ieee_underflow 0
		.amdhsa_exception_fp_ieee_inexact 0
		.amdhsa_exception_int_div_zero 0
	.end_amdhsa_kernel
	.text
.Lfunc_end12:
	.size	_Z31calcMonotonicQGradientsForElemsPKdS0_S0_S0_S0_S0_PKiS0_PdS3_S3_S3_S3_S3_S0_i, .Lfunc_end12-_Z31calcMonotonicQGradientsForElemsPKdS0_S0_S0_S0_S0_PKiS0_PdS3_S3_S3_S3_S3_S0_i
                                        ; -- End function
	.section	.AMDGPU.csdata,"",@progbits
; Kernel info:
; codeLenInByte = 3612
; NumSgprs: 32
; NumVgprs: 128
; NumAgprs: 0
; TotalNumVgprs: 128
; ScratchSize: 0
; MemoryBound: 0
; FloatMode: 240
; IeeeMode: 1
; LDSByteSize: 0 bytes/workgroup (compile time only)
; SGPRBlocks: 3
; VGPRBlocks: 15
; NumSGPRsForWavesPerEU: 32
; NumVGPRsForWavesPerEU: 128
; AccumOffset: 128
; Occupancy: 4
; WaveLimiterHint : 0
; COMPUTE_PGM_RSRC2:SCRATCH_EN: 0
; COMPUTE_PGM_RSRC2:USER_SGPR: 6
; COMPUTE_PGM_RSRC2:TRAP_HANDLER: 0
; COMPUTE_PGM_RSRC2:TGID_X_EN: 1
; COMPUTE_PGM_RSRC2:TGID_Y_EN: 0
; COMPUTE_PGM_RSRC2:TGID_Z_EN: 0
; COMPUTE_PGM_RSRC2:TIDIG_COMP_CNT: 0
; COMPUTE_PGM_RSRC3_GFX90A:ACCUM_OFFSET: 31
; COMPUTE_PGM_RSRC3_GFX90A:TG_SPLIT: 0
	.text
	.protected	_Z22calcMonotonicQForElemsPKiPKdPdS3_S2_S2_S2_S2_S2_S2_S2_S2_S0_S0_S0_S0_S0_S0_S2_ddddi ; -- Begin function _Z22calcMonotonicQForElemsPKiPKdPdS3_S2_S2_S2_S2_S2_S2_S2_S2_S0_S0_S0_S0_S0_S0_S2_ddddi
	.globl	_Z22calcMonotonicQForElemsPKiPKdPdS3_S2_S2_S2_S2_S2_S2_S2_S2_S0_S0_S0_S0_S0_S0_S2_ddddi
	.p2align	8
	.type	_Z22calcMonotonicQForElemsPKiPKdPdS3_S2_S2_S2_S2_S2_S2_S2_S2_S0_S0_S0_S0_S0_S0_S2_ddddi,@function
_Z22calcMonotonicQForElemsPKiPKdPdS3_S2_S2_S2_S2_S2_S2_S2_S2_S0_S0_S0_S0_S0_S0_S2_ddddi: ; @_Z22calcMonotonicQForElemsPKiPKdPdS3_S2_S2_S2_S2_S2_S2_S2_S2_S0_S0_S0_S0_S0_S0_S2_ddddi
; %bb.0:
	s_load_dword s0, s[4:5], 0xcc
	s_load_dword s1, s[4:5], 0xb8
	s_waitcnt lgkmcnt(0)
	s_and_b32 s0, s0, 0xffff
	s_mul_i32 s6, s6, s0
	v_add_u32_e32 v0, s6, v0
	v_cmp_gt_i32_e32 vcc, s1, v0
	s_and_saveexec_b64 s[0:1], vcc
	s_cbranch_execz .LBB13_76
; %bb.1:
	s_load_dwordx2 s[34:35], s[4:5], 0x90
	s_load_dwordx4 s[0:3], s[4:5], 0x80
	s_load_dwordx8 s[36:43], s[4:5], 0x60
	s_load_dwordx8 s[24:31], s[4:5], 0x40
	;; [unrolled: 1-line block ×4, first 2 shown]
	v_ashrrev_i32_e32 v1, 31, v0
	v_lshlrev_b64 v[10:11], 2, v[0:1]
	v_lshlrev_b64 v[0:1], 3, v[0:1]
	s_waitcnt lgkmcnt(0)
	v_mov_b32_e32 v3, s9
	v_add_co_u32_e32 v2, vcc, s8, v10
	v_addc_co_u32_e32 v3, vcc, v3, v11, vcc
	global_load_dword v20, v[2:3], off
	v_mov_b32_e32 v3, s29
	v_add_co_u32_e32 v2, vcc, s28, v0
	v_addc_co_u32_e32 v3, vcc, v3, v1, vcc
	global_load_dwordx2 v[2:3], v[2:3], off
	s_mov_b64 s[8:9], 0
                                        ; implicit-def: $vgpr4_vgpr5
	s_waitcnt vmcnt(1)
	v_and_b32_e32 v6, 7, v20
	v_cmp_lt_i32_e32 vcc, 1, v6
	s_and_saveexec_b64 s[6:7], vcc
	s_xor_b64 s[6:7], exec, s[6:7]
	s_cbranch_execz .LBB13_4
; %bb.2:
	v_cmp_lt_i32_e32 vcc, 3, v6
	s_mov_b64 s[44:45], 0
	s_mov_b64 s[46:47], 0
	s_and_saveexec_b64 s[48:49], vcc
	s_xor_b64 s[48:49], exec, s[48:49]
	s_cbranch_execz .LBB13_6
; %bb.3:
	v_cmp_ne_u32_e32 vcc, 4, v6
	s_mov_b64 s[8:9], exec
	s_and_b64 s[46:47], vcc, exec
                                        ; implicit-def: $vgpr6
	s_andn2_saveexec_b64 s[48:49], s[48:49]
	s_branch .LBB13_7
.LBB13_4:
	s_andn2_saveexec_b64 s[6:7], s[6:7]
	s_cbranch_execz .LBB13_13
.LBB13_5:
	v_cmp_gt_i32_e32 vcc, 1, v6
	s_andn2_b64 s[8:9], s[8:9], exec
	s_and_b64 s[44:45], vcc, exec
	s_or_b64 s[8:9], s[8:9], s[44:45]
	s_waitcnt vmcnt(0)
	v_pk_mov_b32 v[4:5], v[2:3], v[2:3] op_sel:[0,1]
	s_or_b64 exec, exec, s[6:7]
	s_and_saveexec_b64 s[6:7], s[8:9]
	s_cbranch_execnz .LBB13_14
	s_branch .LBB13_15
.LBB13_6:
	s_andn2_saveexec_b64 s[48:49], s[48:49]
.LBB13_7:
	v_cmp_ne_u32_e32 vcc, 2, v6
	s_andn2_b64 s[46:47], s[46:47], exec
	s_and_b64 s[50:51], vcc, exec
	s_mov_b64 s[44:45], exec
	s_or_b64 s[46:47], s[46:47], s[50:51]
; %bb.8:
	s_or_b64 exec, exec, s[48:49]
                                        ; implicit-def: $sgpr48_sgpr49
	s_and_saveexec_b64 s[50:51], s[46:47]
	s_xor_b64 s[46:47], exec, s[50:51]
; %bb.9:
	s_mov_b64 s[48:49], 0
	s_andn2_b64 s[8:9], s[8:9], exec
	s_andn2_b64 s[44:45], s[44:45], exec
; %bb.10:
	s_or_b64 exec, exec, s[46:47]
	v_pk_mov_b32 v[4:5], s[48:49], s[48:49] op_sel:[0,1]
	s_and_saveexec_b64 s[46:47], s[44:45]
	s_xor_b64 s[44:45], exec, s[46:47]
; %bb.11:
	v_pk_mov_b32 v[4:5], 0, 0
; %bb.12:
	s_or_b64 exec, exec, s[44:45]
	s_and_b64 s[8:9], s[8:9], exec
                                        ; implicit-def: $vgpr6
	s_andn2_saveexec_b64 s[6:7], s[6:7]
	s_cbranch_execnz .LBB13_5
.LBB13_13:
	s_or_b64 exec, exec, s[6:7]
	s_and_saveexec_b64 s[6:7], s[8:9]
	s_cbranch_execz .LBB13_15
.LBB13_14:
	v_mov_b32_e32 v5, s37
	v_add_co_u32_e32 v4, vcc, s36, v10
	v_addc_co_u32_e32 v5, vcc, v5, v11, vcc
	global_load_dword v4, v[4:5], off
	v_mov_b32_e32 v6, s29
	s_waitcnt vmcnt(0)
	v_ashrrev_i32_e32 v5, 31, v4
	v_lshlrev_b64 v[4:5], 3, v[4:5]
	v_add_co_u32_e32 v4, vcc, s28, v4
	v_addc_co_u32_e32 v5, vcc, v6, v5, vcc
	global_load_dwordx2 v[4:5], v[4:5], off
.LBB13_15:
	s_or_b64 exec, exec, s[6:7]
	v_bfe_u32 v8, v20, 3, 3
	v_cmp_lt_i32_e32 vcc, 0, v8
	s_mov_b64 s[8:9], -1
                                        ; implicit-def: $vgpr6_vgpr7
	s_and_saveexec_b64 s[6:7], vcc
	s_cbranch_execz .LBB13_23
; %bb.16:
	v_cmp_lt_i32_e32 vcc, 3, v8
	s_mov_b64 s[8:9], 0
                                        ; implicit-def: $sgpr44_sgpr45
	s_and_saveexec_b64 s[36:37], vcc
	s_xor_b64 s[36:37], exec, s[36:37]
; %bb.17:
	v_cmp_eq_u32_e32 vcc, 4, v8
	s_mov_b64 s[44:45], 0
	s_and_b64 s[8:9], vcc, exec
                                        ; implicit-def: $vgpr8
; %bb.18:
	s_or_saveexec_b64 s[36:37], s[36:37]
	v_pk_mov_b32 v[6:7], s[44:45], s[44:45] op_sel:[0,1]
	s_xor_b64 exec, exec, s[36:37]
	s_cbranch_execz .LBB13_22
; %bb.19:
	v_cmp_eq_u32_e32 vcc, 1, v8
	v_pk_mov_b32 v[6:7], 0, 0
	s_and_saveexec_b64 s[44:45], vcc
	s_cbranch_execz .LBB13_21
; %bb.20:
	s_waitcnt vmcnt(0)
	v_pk_mov_b32 v[6:7], v[2:3], v[2:3] op_sel:[0,1]
.LBB13_21:
	s_or_b64 exec, exec, s[44:45]
.LBB13_22:
	s_or_b64 exec, exec, s[36:37]
	s_orn2_b64 s[8:9], s[8:9], exec
.LBB13_23:
	s_or_b64 exec, exec, s[6:7]
	s_and_saveexec_b64 s[6:7], s[8:9]
	s_cbranch_execz .LBB13_25
; %bb.24:
	v_mov_b32_e32 v7, s39
	v_add_co_u32_e32 v6, vcc, s38, v10
	v_addc_co_u32_e32 v7, vcc, v7, v11, vcc
	global_load_dword v6, v[6:7], off
	v_mov_b32_e32 v8, s29
	s_waitcnt vmcnt(0)
	v_ashrrev_i32_e32 v7, 31, v6
	v_lshlrev_b64 v[6:7], 3, v[6:7]
	v_add_co_u32_e32 v6, vcc, s28, v6
	v_addc_co_u32_e32 v7, vcc, v8, v7, vcc
	global_load_dwordx2 v[6:7], v[6:7], off
.LBB13_25:
	s_or_b64 exec, exec, s[6:7]
	v_mov_b32_e32 v9, s21
	v_add_co_u32_e32 v8, vcc, s20, v0
	v_addc_co_u32_e32 v9, vcc, v9, v1, vcc
	global_load_dwordx2 v[8:9], v[8:9], off
	v_bfe_u32 v12, v20, 6, 3
	v_cmp_lt_i32_e32 vcc, 1, v12
	s_mov_b64 s[8:9], 0
                                        ; implicit-def: $vgpr14_vgpr15
	s_and_saveexec_b64 s[6:7], vcc
	s_xor_b64 s[6:7], exec, s[6:7]
	s_cbranch_execz .LBB13_28
; %bb.26:
	v_cmp_lt_i32_e32 vcc, 3, v12
	s_mov_b64 s[28:29], 0
	s_mov_b64 s[36:37], 0
	s_and_saveexec_b64 s[38:39], vcc
	s_xor_b64 s[38:39], exec, s[38:39]
	s_cbranch_execz .LBB13_30
; %bb.27:
	v_cmp_ne_u32_e32 vcc, 4, v12
	s_mov_b64 s[8:9], exec
	s_and_b64 s[36:37], vcc, exec
                                        ; implicit-def: $vgpr12
	s_andn2_saveexec_b64 s[38:39], s[38:39]
	s_branch .LBB13_31
.LBB13_28:
	s_andn2_saveexec_b64 s[6:7], s[6:7]
	s_cbranch_execz .LBB13_37
.LBB13_29:
	v_cmp_gt_i32_e32 vcc, 1, v12
	s_andn2_b64 s[8:9], s[8:9], exec
	s_and_b64 s[28:29], vcc, exec
	s_or_b64 s[8:9], s[8:9], s[28:29]
	s_waitcnt vmcnt(0)
	v_pk_mov_b32 v[14:15], v[8:9], v[8:9] op_sel:[0,1]
	s_or_b64 exec, exec, s[6:7]
	s_and_saveexec_b64 s[6:7], s[8:9]
	s_cbranch_execnz .LBB13_38
	s_branch .LBB13_39
.LBB13_30:
	s_andn2_saveexec_b64 s[38:39], s[38:39]
.LBB13_31:
	v_cmp_ne_u32_e32 vcc, 2, v12
	s_andn2_b64 s[36:37], s[36:37], exec
	s_and_b64 s[44:45], vcc, exec
	s_mov_b64 s[28:29], exec
	s_or_b64 s[36:37], s[36:37], s[44:45]
; %bb.32:
	s_or_b64 exec, exec, s[38:39]
                                        ; implicit-def: $sgpr38_sgpr39
	s_and_saveexec_b64 s[44:45], s[36:37]
	s_xor_b64 s[36:37], exec, s[44:45]
; %bb.33:
	s_mov_b64 s[38:39], 0
	s_andn2_b64 s[8:9], s[8:9], exec
	s_andn2_b64 s[28:29], s[28:29], exec
; %bb.34:
	s_or_b64 exec, exec, s[36:37]
	v_pk_mov_b32 v[14:15], s[38:39], s[38:39] op_sel:[0,1]
	s_and_saveexec_b64 s[36:37], s[28:29]
	s_xor_b64 s[28:29], exec, s[36:37]
; %bb.35:
	v_pk_mov_b32 v[14:15], 0, 0
; %bb.36:
	s_or_b64 exec, exec, s[28:29]
	s_and_b64 s[8:9], s[8:9], exec
                                        ; implicit-def: $vgpr12
	s_andn2_saveexec_b64 s[6:7], s[6:7]
	s_cbranch_execnz .LBB13_29
.LBB13_37:
	s_or_b64 exec, exec, s[6:7]
	s_and_saveexec_b64 s[6:7], s[8:9]
	s_cbranch_execz .LBB13_39
.LBB13_38:
	v_mov_b32_e32 v13, s3
	v_add_co_u32_e32 v12, vcc, s2, v10
	v_addc_co_u32_e32 v13, vcc, v13, v11, vcc
	global_load_dword v12, v[12:13], off
	v_mov_b32_e32 v14, s21
	s_waitcnt vmcnt(0)
	v_ashrrev_i32_e32 v13, 31, v12
	v_lshlrev_b64 v[12:13], 3, v[12:13]
	v_add_co_u32_e32 v12, vcc, s20, v12
	v_addc_co_u32_e32 v13, vcc, v14, v13, vcc
	global_load_dwordx2 v[14:15], v[12:13], off
.LBB13_39:
	s_or_b64 exec, exec, s[6:7]
	v_bfe_u32 v12, v20, 9, 3
	v_cmp_lt_i32_e32 vcc, 0, v12
	s_mov_b64 s[6:7], -1
                                        ; implicit-def: $vgpr18_vgpr19
	s_and_saveexec_b64 s[2:3], vcc
	s_cbranch_execz .LBB13_47
; %bb.40:
	v_cmp_lt_i32_e32 vcc, 3, v12
	s_mov_b64 s[6:7], 0
                                        ; implicit-def: $sgpr28_sgpr29
	s_and_saveexec_b64 s[8:9], vcc
	s_xor_b64 s[8:9], exec, s[8:9]
; %bb.41:
	v_cmp_eq_u32_e32 vcc, 4, v12
	s_mov_b64 s[28:29], 0
	s_and_b64 s[6:7], vcc, exec
                                        ; implicit-def: $vgpr12
; %bb.42:
	s_or_saveexec_b64 s[8:9], s[8:9]
	v_pk_mov_b32 v[18:19], s[28:29], s[28:29] op_sel:[0,1]
	s_xor_b64 exec, exec, s[8:9]
	s_cbranch_execz .LBB13_46
; %bb.43:
	v_cmp_eq_u32_e32 vcc, 1, v12
	v_pk_mov_b32 v[18:19], 0, 0
	s_and_saveexec_b64 s[28:29], vcc
	s_cbranch_execz .LBB13_45
; %bb.44:
	s_waitcnt vmcnt(0)
	v_pk_mov_b32 v[18:19], v[8:9], v[8:9] op_sel:[0,1]
.LBB13_45:
	s_or_b64 exec, exec, s[28:29]
.LBB13_46:
	s_or_b64 exec, exec, s[8:9]
	s_orn2_b64 s[6:7], s[6:7], exec
.LBB13_47:
	s_or_b64 exec, exec, s[2:3]
	s_and_saveexec_b64 s[2:3], s[6:7]
	s_cbranch_execz .LBB13_49
; %bb.48:
	v_mov_b32_e32 v13, s1
	v_add_co_u32_e32 v12, vcc, s0, v10
	v_addc_co_u32_e32 v13, vcc, v13, v11, vcc
	global_load_dword v12, v[12:13], off
	v_mov_b32_e32 v16, s21
	s_waitcnt vmcnt(0)
	v_ashrrev_i32_e32 v13, 31, v12
	v_lshlrev_b64 v[12:13], 3, v[12:13]
	v_add_co_u32_e32 v12, vcc, s20, v12
	v_addc_co_u32_e32 v13, vcc, v16, v13, vcc
	global_load_dwordx2 v[18:19], v[12:13], off
.LBB13_49:
	s_or_b64 exec, exec, s[2:3]
	v_mov_b32_e32 v13, s25
	v_add_co_u32_e32 v12, vcc, s24, v0
	v_addc_co_u32_e32 v13, vcc, v13, v1, vcc
	global_load_dwordx2 v[12:13], v[12:13], off
	v_bfe_u32 v21, v20, 12, 3
	v_cmp_lt_i32_e32 vcc, 1, v21
	s_mov_b64 s[2:3], 0
                                        ; implicit-def: $vgpr16_vgpr17
	s_and_saveexec_b64 s[0:1], vcc
	s_xor_b64 s[0:1], exec, s[0:1]
	s_cbranch_execz .LBB13_52
; %bb.50:
	v_cmp_lt_i32_e32 vcc, 3, v21
	s_mov_b64 s[6:7], 0
	s_mov_b64 s[8:9], 0
	s_and_saveexec_b64 s[20:21], vcc
	s_xor_b64 s[20:21], exec, s[20:21]
	s_cbranch_execz .LBB13_54
; %bb.51:
	v_cmp_ne_u32_e32 vcc, 4, v21
	s_mov_b64 s[2:3], exec
	s_and_b64 s[8:9], vcc, exec
                                        ; implicit-def: $vgpr21
	s_andn2_saveexec_b64 s[20:21], s[20:21]
	s_branch .LBB13_55
.LBB13_52:
	s_andn2_saveexec_b64 s[0:1], s[0:1]
	s_cbranch_execz .LBB13_61
.LBB13_53:
	v_cmp_gt_i32_e32 vcc, 1, v21
	s_andn2_b64 s[2:3], s[2:3], exec
	s_and_b64 s[6:7], vcc, exec
	s_or_b64 s[2:3], s[2:3], s[6:7]
	s_waitcnt vmcnt(0)
	v_pk_mov_b32 v[16:17], v[12:13], v[12:13] op_sel:[0,1]
	s_or_b64 exec, exec, s[0:1]
	s_and_saveexec_b64 s[0:1], s[2:3]
	s_cbranch_execnz .LBB13_62
	s_branch .LBB13_63
.LBB13_54:
	s_andn2_saveexec_b64 s[20:21], s[20:21]
.LBB13_55:
	v_cmp_ne_u32_e32 vcc, 2, v21
	s_andn2_b64 s[8:9], s[8:9], exec
	s_and_b64 s[28:29], vcc, exec
	s_mov_b64 s[6:7], exec
	s_or_b64 s[8:9], s[8:9], s[28:29]
; %bb.56:
	s_or_b64 exec, exec, s[20:21]
                                        ; implicit-def: $sgpr20_sgpr21
	s_and_saveexec_b64 s[28:29], s[8:9]
	s_xor_b64 s[8:9], exec, s[28:29]
; %bb.57:
	s_mov_b64 s[20:21], 0
	s_andn2_b64 s[2:3], s[2:3], exec
	s_andn2_b64 s[6:7], s[6:7], exec
; %bb.58:
	s_or_b64 exec, exec, s[8:9]
	v_pk_mov_b32 v[16:17], s[20:21], s[20:21] op_sel:[0,1]
	s_and_saveexec_b64 s[8:9], s[6:7]
	s_xor_b64 s[6:7], exec, s[8:9]
; %bb.59:
	v_pk_mov_b32 v[16:17], 0, 0
; %bb.60:
	s_or_b64 exec, exec, s[6:7]
	s_and_b64 s[2:3], s[2:3], exec
                                        ; implicit-def: $vgpr21
	s_andn2_saveexec_b64 s[0:1], s[0:1]
	s_cbranch_execnz .LBB13_53
.LBB13_61:
	s_or_b64 exec, exec, s[0:1]
	s_and_saveexec_b64 s[0:1], s[2:3]
	s_cbranch_execz .LBB13_63
.LBB13_62:
	v_mov_b32_e32 v17, s41
	v_add_co_u32_e32 v16, vcc, s40, v10
	v_addc_co_u32_e32 v17, vcc, v17, v11, vcc
	global_load_dword v16, v[16:17], off
	v_mov_b32_e32 v21, s25
	s_waitcnt vmcnt(0)
	v_ashrrev_i32_e32 v17, 31, v16
	v_lshlrev_b64 v[16:17], 3, v[16:17]
	v_add_co_u32_e32 v16, vcc, s24, v16
	v_addc_co_u32_e32 v17, vcc, v21, v17, vcc
	global_load_dwordx2 v[16:17], v[16:17], off
.LBB13_63:
	s_or_b64 exec, exec, s[0:1]
	v_bfe_u32 v22, v20, 15, 3
	v_cmp_lt_i32_e32 vcc, 0, v22
	s_mov_b64 s[2:3], -1
                                        ; implicit-def: $vgpr20_vgpr21
	s_and_saveexec_b64 s[0:1], vcc
	s_cbranch_execz .LBB13_71
; %bb.64:
	v_cmp_lt_i32_e32 vcc, 3, v22
	s_mov_b64 s[2:3], 0
                                        ; implicit-def: $sgpr8_sgpr9
	s_and_saveexec_b64 s[6:7], vcc
	s_xor_b64 s[6:7], exec, s[6:7]
; %bb.65:
	v_cmp_eq_u32_e32 vcc, 4, v22
	s_mov_b64 s[8:9], 0
	s_and_b64 s[2:3], vcc, exec
                                        ; implicit-def: $vgpr22
; %bb.66:
	s_or_saveexec_b64 s[6:7], s[6:7]
	v_pk_mov_b32 v[20:21], s[8:9], s[8:9] op_sel:[0,1]
	s_xor_b64 exec, exec, s[6:7]
	s_cbranch_execz .LBB13_70
; %bb.67:
	v_cmp_eq_u32_e32 vcc, 1, v22
	v_pk_mov_b32 v[20:21], 0, 0
	s_and_saveexec_b64 s[8:9], vcc
	s_cbranch_execz .LBB13_69
; %bb.68:
	s_waitcnt vmcnt(0)
	v_pk_mov_b32 v[20:21], v[12:13], v[12:13] op_sel:[0,1]
.LBB13_69:
	s_or_b64 exec, exec, s[8:9]
.LBB13_70:
	s_or_b64 exec, exec, s[6:7]
	s_orn2_b64 s[2:3], s[2:3], exec
.LBB13_71:
	s_or_b64 exec, exec, s[0:1]
	s_and_saveexec_b64 s[0:1], s[2:3]
	s_cbranch_execz .LBB13_73
; %bb.72:
	v_mov_b32_e32 v20, s43
	v_add_co_u32_e32 v10, vcc, s42, v10
	v_addc_co_u32_e32 v11, vcc, v20, v11, vcc
	global_load_dword v10, v[10:11], off
	v_mov_b32_e32 v20, s25
	s_waitcnt vmcnt(0)
	v_ashrrev_i32_e32 v11, 31, v10
	v_lshlrev_b64 v[10:11], 3, v[10:11]
	v_add_co_u32_e32 v10, vcc, s24, v10
	v_addc_co_u32_e32 v11, vcc, v20, v11, vcc
	global_load_dwordx2 v[20:21], v[10:11], off
.LBB13_73:
	s_or_b64 exec, exec, s[0:1]
	v_mov_b32_e32 v11, s17
	v_add_co_u32_e32 v10, vcc, s16, v0
	v_addc_co_u32_e32 v11, vcc, v11, v1, vcc
	global_load_dwordx2 v[10:11], v[10:11], off
	v_pk_mov_b32 v[22:23], 0, 0
	s_waitcnt vmcnt(0)
	v_cmp_nlt_f64_e32 vcc, 0, v[10:11]
	v_pk_mov_b32 v[10:11], v[22:23], v[22:23] op_sel:[0,1]
	s_and_saveexec_b64 s[8:9], vcc
	s_cbranch_execz .LBB13_75
; %bb.74:
	s_mov_b32 s16, 0x932d2e72
	s_mov_b32 s17, 0x38754484
	v_add_f64 v[10:11], v[8:9], s[16:17]
	v_div_scale_f64 v[22:23], s[0:1], v[10:11], v[10:11], 1.0
	v_rcp_f64_e32 v[24:25], v[22:23]
	s_load_dwordx8 s[0:7], s[4:5], 0x98
	v_mov_b32_e32 v31, s35
	v_fma_f64 v[26:27], -v[22:23], v[24:25], 1.0
	v_fmac_f64_e32 v[24:25], v[24:25], v[26:27]
	v_fma_f64 v[26:27], -v[22:23], v[24:25], 1.0
	v_fmac_f64_e32 v[24:25], v[24:25], v[26:27]
	v_div_scale_f64 v[26:27], vcc, 1.0, v[10:11], 1.0
	v_mul_f64 v[28:29], v[26:27], v[24:25]
	v_fma_f64 v[22:23], -v[22:23], v[28:29], v[26:27]
	v_mov_b32_e32 v27, s11
	s_nop 0
	v_div_fmas_f64 v[22:23], v[22:23], v[24:25], v[28:29]
	v_div_fixup_f64 v[10:11], v[22:23], v[10:11], 1.0
	v_mul_f64 v[18:19], v[10:11], v[18:19]
	v_mul_f64 v[22:23], v[10:11], v[14:15]
	v_fma_f64 v[10:11], v[10:11], v[14:15], v[18:19]
	v_mul_f64 v[10:11], v[10:11], 0.5
	s_waitcnt lgkmcnt(0)
	v_mul_f64 v[14:15], v[22:23], s[0:1]
	v_cmp_lt_f64_e32 vcc, v[14:15], v[10:11]
	v_mul_f64 v[18:19], v[18:19], s[0:1]
	v_cndmask_b32_e32 v11, v11, v15, vcc
	v_cndmask_b32_e32 v10, v10, v14, vcc
	v_cmp_lt_f64_e32 vcc, v[18:19], v[10:11]
	v_cndmask_b32_e32 v11, v11, v19, vcc
	v_cndmask_b32_e32 v10, v10, v18, vcc
	v_cmp_ngt_f64_e32 vcc, 0, v[10:11]
	v_cndmask_b32_e32 v15, 0, v11, vcc
	v_cndmask_b32_e32 v14, 0, v10, vcc
	v_mov_b32_e32 v19, s31
	v_add_co_u32_e32 v18, vcc, s30, v0
	v_addc_co_u32_e32 v19, vcc, v19, v1, vcc
	v_mov_b32_e32 v23, s23
	v_add_co_u32_e32 v22, vcc, s22, v0
	v_addc_co_u32_e32 v23, vcc, v23, v1, vcc
	;; [unrolled: 3-line block ×3, first 2 shown]
	v_add_co_u32_e32 v26, vcc, s10, v0
	v_addc_co_u32_e32 v27, vcc, v27, v1, vcc
	v_mov_b32_e32 v29, s19
	v_add_co_u32_e32 v28, vcc, s18, v0
	v_addc_co_u32_e32 v29, vcc, v29, v1, vcc
	v_add_co_u32_e32 v30, vcc, s34, v0
	global_load_dwordx2 v[24:25], v[24:25], off
	v_addc_co_u32_e32 v31, vcc, v31, v1, vcc
	global_load_dwordx2 v[28:29], v[28:29], off
	v_add_f64 v[10:11], v[12:13], s[16:17]
	global_load_dwordx2 v[18:19], v[18:19], off
	v_mov_b32_e32 v44, s3
	global_load_dwordx2 v[22:23], v[22:23], off
	s_nop 0
	global_load_dwordx2 v[32:33], v[30:31], off
	global_load_dwordx2 v[34:35], v[26:27], off
	v_div_scale_f64 v[26:27], s[10:11], v[10:11], v[10:11], 1.0
	v_rcp_f64_e32 v[30:31], v[26:27]
	v_cmp_lt_f64_e32 vcc, s[2:3], v[14:15]
	v_mov_b32_e32 v45, s2
	v_cndmask_b32_e32 v15, v15, v44, vcc
	v_fma_f64 v[36:37], -v[26:27], v[30:31], 1.0
	v_fmac_f64_e32 v[30:31], v[30:31], v[36:37]
	v_fma_f64 v[36:37], -v[26:27], v[30:31], 1.0
	v_cndmask_b32_e32 v14, v14, v45, vcc
	v_fmac_f64_e32 v[30:31], v[30:31], v[36:37]
	v_div_scale_f64 v[36:37], vcc, 1.0, v[10:11], 1.0
	v_mul_f64 v[38:39], v[36:37], v[30:31]
	v_fma_f64 v[26:27], -v[26:27], v[38:39], v[36:37]
	v_add_f64 v[36:37], v[2:3], s[16:17]
	v_div_scale_f64 v[40:41], s[10:11], v[36:37], v[36:37], 1.0
	v_rcp_f64_e32 v[42:43], v[40:41]
	v_div_fmas_f64 v[26:27], v[26:27], v[30:31], v[38:39]
	v_div_fixup_f64 v[10:11], v[26:27], v[10:11], 1.0
	v_fma_f64 v[26:27], -v[40:41], v[42:43], 1.0
	v_fmac_f64_e32 v[42:43], v[42:43], v[26:27]
	v_fma_f64 v[26:27], -v[40:41], v[42:43], 1.0
	v_fmac_f64_e32 v[42:43], v[42:43], v[26:27]
	v_div_scale_f64 v[26:27], vcc, 1.0, v[36:37], 1.0
	v_mul_f64 v[30:31], v[26:27], v[42:43]
	v_fma_f64 v[26:27], -v[40:41], v[30:31], v[26:27]
	s_waitcnt vmcnt(3)
	v_mul_f64 v[2:3], v[2:3], v[18:19]
	v_div_fmas_f64 v[26:27], v[26:27], v[42:43], v[30:31]
	v_div_fixup_f64 v[26:27], v[26:27], v[36:37], 1.0
	v_mul_f64 v[6:7], v[26:27], v[6:7]
	v_mul_f64 v[30:31], v[26:27], v[4:5]
	v_fma_f64 v[4:5], v[26:27], v[4:5], v[6:7]
	v_mul_f64 v[4:5], v[4:5], 0.5
	v_mul_f64 v[26:27], v[30:31], s[0:1]
	v_cmp_lt_f64_e32 vcc, v[26:27], v[4:5]
	v_mul_f64 v[6:7], v[6:7], s[0:1]
	v_cndmask_b32_e32 v5, v5, v27, vcc
	v_cndmask_b32_e32 v4, v4, v26, vcc
	v_cmp_lt_f64_e32 vcc, v[6:7], v[4:5]
	v_cndmask_b32_e32 v5, v5, v7, vcc
	v_cndmask_b32_e32 v4, v4, v6, vcc
	v_cmp_ngt_f64_e32 vcc, 0, v[4:5]
	v_mul_f64 v[6:7], v[10:11], v[20:21]
	v_cndmask_b32_e32 v5, 0, v5, vcc
	v_cndmask_b32_e32 v4, 0, v4, vcc
	v_mul_f64 v[20:21], v[6:7], s[0:1]
	v_mul_f64 v[26:27], v[10:11], v[16:17]
	v_fmac_f64_e32 v[6:7], v[10:11], v[16:17]
	v_cmp_lt_f64_e32 vcc, s[2:3], v[4:5]
	v_mul_f64 v[26:27], v[26:27], s[0:1]
	v_mul_f64 v[6:7], v[6:7], 0.5
	v_cndmask_b32_e32 v5, v5, v44, vcc
	v_cndmask_b32_e32 v4, v4, v45, vcc
	v_cmp_lt_f64_e32 vcc, v[26:27], v[6:7]
	v_cndmask_b32_e32 v7, v7, v27, vcc
	v_cndmask_b32_e32 v6, v6, v26, vcc
	v_cmp_lt_f64_e32 vcc, v[20:21], v[6:7]
	v_cndmask_b32_e32 v7, v7, v21, vcc
	v_cndmask_b32_e32 v6, v6, v20, vcc
	v_cmp_ngt_f64_e32 vcc, 0, v[6:7]
	v_mul_f64 v[10:11], v[12:13], v[24:25]
	s_waitcnt vmcnt(1)
	v_mul_f64 v[12:13], v[28:29], v[32:33]
	v_cndmask_b32_e32 v7, 0, v7, vcc
	v_cndmask_b32_e32 v6, 0, v6, vcc
	s_waitcnt vmcnt(0)
	v_div_scale_f64 v[16:17], s[0:1], v[12:13], v[12:13], v[34:35]
	v_cmp_lt_f64_e32 vcc, s[2:3], v[6:7]
	v_rcp_f64_e32 v[18:19], v[16:17]
	v_cndmask_b32_e32 v7, v7, v44, vcc
	v_cndmask_b32_e32 v6, v6, v45, vcc
	v_mul_f64 v[8:9], v[8:9], v[22:23]
	v_cmp_nlt_f64_e32 vcc, 0, v[2:3]
	v_cndmask_b32_e32 v3, 0, v3, vcc
	v_cndmask_b32_e32 v2, 0, v2, vcc
	v_cmp_nlt_f64_e32 vcc, 0, v[8:9]
	v_cndmask_b32_e32 v9, 0, v9, vcc
	v_cndmask_b32_e32 v8, 0, v8, vcc
	;; [unrolled: 3-line block ×3, first 2 shown]
	v_fma_f64 v[10:11], -v[16:17], v[18:19], 1.0
	v_fmac_f64_e32 v[18:19], v[18:19], v[10:11]
	v_fma_f64 v[10:11], -v[16:17], v[18:19], 1.0
	v_fmac_f64_e32 v[18:19], v[18:19], v[10:11]
	v_div_scale_f64 v[10:11], vcc, v[34:35], v[12:13], v[34:35]
	v_mul_f64 v[22:23], v[10:11], v[18:19]
	v_fma_f64 v[10:11], -v[16:17], v[22:23], v[10:11]
	v_add_f64 v[16:17], -v[4:5], 1.0
	s_nop 0
	v_div_fmas_f64 v[10:11], v[10:11], v[18:19], v[22:23]
	v_add_f64 v[18:19], -v[14:15], 1.0
	v_mul_f64 v[18:19], v[18:19], v[8:9]
	v_mul_f64 v[8:9], v[8:9], v[8:9]
	v_fma_f64 v[14:15], -v[14:15], v[14:15], 1.0
	v_fmac_f64_e32 v[18:19], v[16:17], v[2:3]
	v_mul_f64 v[2:3], v[2:3], v[2:3]
	v_fma_f64 v[4:5], -v[4:5], v[4:5], 1.0
	v_mul_f64 v[8:9], v[14:15], v[8:9]
	v_div_fixup_f64 v[12:13], v[10:11], v[12:13], v[34:35]
	v_add_f64 v[16:17], -v[6:7], 1.0
	v_fmac_f64_e32 v[8:9], v[4:5], v[2:3]
	v_mul_f64 v[2:3], v[20:21], v[20:21]
	v_fma_f64 v[4:5], -v[6:7], v[6:7], 1.0
	v_mul_f64 v[10:11], v[12:13], -s[4:5]
	v_fmac_f64_e32 v[18:19], v[16:17], v[20:21]
	v_mul_f64 v[12:13], v[12:13], s[6:7]
	v_fmac_f64_e32 v[8:9], v[4:5], v[2:3]
	v_mul_f64 v[10:11], v[18:19], v[10:11]
	v_mul_f64 v[22:23], v[12:13], v[8:9]
.LBB13_75:
	s_or_b64 exec, exec, s[8:9]
	v_mov_b32_e32 v3, s15
	v_add_co_u32_e32 v2, vcc, s14, v0
	v_addc_co_u32_e32 v3, vcc, v3, v1, vcc
	global_store_dwordx2 v[2:3], v[22:23], off
	v_mov_b32_e32 v2, s13
	v_add_co_u32_e32 v0, vcc, s12, v0
	v_addc_co_u32_e32 v1, vcc, v2, v1, vcc
	global_store_dwordx2 v[0:1], v[10:11], off
.LBB13_76:
	s_endpgm
	.section	.rodata,"a",@progbits
	.p2align	6, 0x0
	.amdhsa_kernel _Z22calcMonotonicQForElemsPKiPKdPdS3_S2_S2_S2_S2_S2_S2_S2_S2_S0_S0_S0_S0_S0_S0_S2_ddddi
		.amdhsa_group_segment_fixed_size 0
		.amdhsa_private_segment_fixed_size 0
		.amdhsa_kernarg_size 448
		.amdhsa_user_sgpr_count 6
		.amdhsa_user_sgpr_private_segment_buffer 1
		.amdhsa_user_sgpr_dispatch_ptr 0
		.amdhsa_user_sgpr_queue_ptr 0
		.amdhsa_user_sgpr_kernarg_segment_ptr 1
		.amdhsa_user_sgpr_dispatch_id 0
		.amdhsa_user_sgpr_flat_scratch_init 0
		.amdhsa_user_sgpr_kernarg_preload_length 0
		.amdhsa_user_sgpr_kernarg_preload_offset 0
		.amdhsa_user_sgpr_private_segment_size 0
		.amdhsa_uses_dynamic_stack 0
		.amdhsa_system_sgpr_private_segment_wavefront_offset 0
		.amdhsa_system_sgpr_workgroup_id_x 1
		.amdhsa_system_sgpr_workgroup_id_y 0
		.amdhsa_system_sgpr_workgroup_id_z 0
		.amdhsa_system_sgpr_workgroup_info 0
		.amdhsa_system_vgpr_workitem_id 0
		.amdhsa_next_free_vgpr 46
		.amdhsa_next_free_sgpr 52
		.amdhsa_accum_offset 48
		.amdhsa_reserve_vcc 1
		.amdhsa_reserve_flat_scratch 0
		.amdhsa_float_round_mode_32 0
		.amdhsa_float_round_mode_16_64 0
		.amdhsa_float_denorm_mode_32 3
		.amdhsa_float_denorm_mode_16_64 3
		.amdhsa_dx10_clamp 1
		.amdhsa_ieee_mode 1
		.amdhsa_fp16_overflow 0
		.amdhsa_tg_split 0
		.amdhsa_exception_fp_ieee_invalid_op 0
		.amdhsa_exception_fp_denorm_src 0
		.amdhsa_exception_fp_ieee_div_zero 0
		.amdhsa_exception_fp_ieee_overflow 0
		.amdhsa_exception_fp_ieee_underflow 0
		.amdhsa_exception_fp_ieee_inexact 0
		.amdhsa_exception_int_div_zero 0
	.end_amdhsa_kernel
	.text
.Lfunc_end13:
	.size	_Z22calcMonotonicQForElemsPKiPKdPdS3_S2_S2_S2_S2_S2_S2_S2_S2_S0_S0_S0_S0_S0_S0_S2_ddddi, .Lfunc_end13-_Z22calcMonotonicQForElemsPKiPKdPdS3_S2_S2_S2_S2_S2_S2_S2_S2_S0_S0_S0_S0_S0_S0_S2_ddddi
                                        ; -- End function
	.section	.AMDGPU.csdata,"",@progbits
; Kernel info:
; codeLenInByte = 2724
; NumSgprs: 56
; NumVgprs: 46
; NumAgprs: 0
; TotalNumVgprs: 46
; ScratchSize: 0
; MemoryBound: 0
; FloatMode: 240
; IeeeMode: 1
; LDSByteSize: 0 bytes/workgroup (compile time only)
; SGPRBlocks: 6
; VGPRBlocks: 5
; NumSGPRsForWavesPerEU: 56
; NumVGPRsForWavesPerEU: 46
; AccumOffset: 48
; Occupancy: 8
; WaveLimiterHint : 1
; COMPUTE_PGM_RSRC2:SCRATCH_EN: 0
; COMPUTE_PGM_RSRC2:USER_SGPR: 6
; COMPUTE_PGM_RSRC2:TRAP_HANDLER: 0
; COMPUTE_PGM_RSRC2:TGID_X_EN: 1
; COMPUTE_PGM_RSRC2:TGID_Y_EN: 0
; COMPUTE_PGM_RSRC2:TGID_Z_EN: 0
; COMPUTE_PGM_RSRC2:TIDIG_COMP_CNT: 0
; COMPUTE_PGM_RSRC3_GFX90A:ACCUM_OFFSET: 11
; COMPUTE_PGM_RSRC3_GFX90A:TG_SPLIT: 0
	.text
	.protected	_Z31applyMaterialPropertiesForElemsPKdS0_S0_PKiS2_PdS3_S3_S3_S3_S3_ddddddddddi ; -- Begin function _Z31applyMaterialPropertiesForElemsPKdS0_S0_PKiS2_PdS3_S3_S3_S3_S3_ddddddddddi
	.globl	_Z31applyMaterialPropertiesForElemsPKdS0_S0_PKiS2_PdS3_S3_S3_S3_S3_ddddddddddi
	.p2align	8
	.type	_Z31applyMaterialPropertiesForElemsPKdS0_S0_PKiS2_PdS3_S3_S3_S3_S3_ddddddddddi,@function
_Z31applyMaterialPropertiesForElemsPKdS0_S0_PKiS2_PdS3_S3_S3_S3_S3_ddddddddddi: ; @_Z31applyMaterialPropertiesForElemsPKdS0_S0_PKiS2_PdS3_S3_S3_S3_S3_ddddddddddi
; %bb.0:
	s_load_dword s0, s[4:5], 0xbc
	s_load_dword s1, s[4:5], 0xa8
	s_waitcnt lgkmcnt(0)
	s_and_b32 s0, s0, 0xffff
	s_mul_i32 s6, s6, s0
	v_add_u32_e32 v0, s6, v0
	v_cmp_gt_i32_e32 vcc, s1, v0
	s_and_saveexec_b64 s[0:1], vcc
	s_cbranch_execz .LBB14_22
; %bb.1:
	s_load_dwordx2 s[0:1], s[4:5], 0x18
	v_ashrrev_i32_e32 v1, 31, v0
	v_lshlrev_b64 v[2:3], 2, v[0:1]
	s_mov_b64 s[24:25], 0
	v_lshlrev_b64 v[0:1], 3, v[0:1]
	s_waitcnt lgkmcnt(0)
	v_mov_b32_e32 v4, s1
	v_add_co_u32_e32 v2, vcc, s0, v2
	v_addc_co_u32_e32 v3, vcc, v4, v3, vcc
	global_load_dword v38, v[2:3], off
	s_load_dwordx8 s[8:15], s[4:5], 0x70
	s_load_dwordx2 s[6:7], s[4:5], 0x50
	s_load_dwordx8 s[16:23], s[4:5], 0x90
	s_waitcnt lgkmcnt(0)
	v_cmp_neq_f64_e64 s[0:1], s[14:15], 0
	s_and_b64 vcc, exec, s[0:1]
	s_cbranch_vccnz .LBB14_3
; %bb.2:
	v_mov_b32_e32 v3, s7
	v_add_co_u32_e32 v2, vcc, s6, v0
	v_addc_co_u32_e32 v3, vcc, v3, v1, vcc
	global_load_dwordx2 v[2:3], v[2:3], off
	s_load_dwordx4 s[0:3], s[4:5], 0x28
	s_load_dwordx2 s[22:23], s[4:5], 0x38
	s_andn2_b64 vcc, exec, s[24:25]
	s_cbranch_vccz .LBB14_4
	s_branch .LBB14_7
.LBB14_3:
                                        ; implicit-def: $vgpr2_vgpr3
	s_load_dwordx4 s[0:3], s[4:5], 0x28
	s_load_dwordx2 s[22:23], s[4:5], 0x38
.LBB14_4:
	s_waitcnt vmcnt(0)
	v_mov_b32_e32 v2, s7
	v_add_co_u32_e32 v4, vcc, s6, v0
	v_addc_co_u32_e32 v5, vcc, v2, v1, vcc
	global_load_dwordx2 v[2:3], v[4:5], off
	s_waitcnt vmcnt(0)
	v_cmp_gt_f64_e32 vcc, s[14:15], v[2:3]
	s_and_saveexec_b64 s[24:25], vcc
	s_cbranch_execz .LBB14_6
; %bb.5:
	v_pk_mov_b32 v[2:3], s[14:15], s[14:15] op_sel:[0,1]
	global_store_dwordx2 v[4:5], v[2:3], off
.LBB14_6:
	s_or_b64 exec, exec, s[24:25]
.LBB14_7:
	v_cmp_neq_f64_e64 s[24:25], s[12:13], 0
	s_waitcnt vmcnt(0)
	v_cmp_lt_f64_e32 vcc, s[12:13], v[2:3]
	s_and_b64 s[26:27], s[24:25], vcc
	s_and_saveexec_b64 s[24:25], s[26:27]
	s_cbranch_execz .LBB14_9
; %bb.8:
	v_mov_b32_e32 v2, s7
	v_add_co_u32_e32 v4, vcc, s6, v0
	v_addc_co_u32_e32 v5, vcc, v2, v1, vcc
	v_pk_mov_b32 v[2:3], s[12:13], s[12:13] op_sel:[0,1]
	global_store_dwordx2 v[4:5], v[2:3], off
.LBB14_9:
	s_or_b64 exec, exec, s[24:25]
	s_waitcnt lgkmcnt(0)
	v_mov_b32_e32 v4, s23
	v_add_co_u32_e32 v6, vcc, s22, v0
	v_addc_co_u32_e32 v7, vcc, v4, v1, vcc
	s_load_dwordx4 s[24:27], s[4:5], 0x40
	v_mov_b32_e32 v4, s3
	v_add_co_u32_e32 v8, vcc, s2, v0
	v_addc_co_u32_e32 v9, vcc, v4, v1, vcc
	v_mov_b32_e32 v5, s1
	v_add_co_u32_e32 v4, vcc, s0, v0
	v_addc_co_u32_e32 v5, vcc, v5, v1, vcc
	v_cmp_gt_i32_e32 vcc, 1, v38
	v_mul_f64 v[10:11], v[2:3], v[2:3]
	s_and_saveexec_b64 s[0:1], vcc
	s_xor_b64 s[0:1], exec, s[0:1]
; %bb.10:
	v_mul_f64 v[10:11], v[2:3], v[2:3]
                                        ; implicit-def: $vgpr38
; %bb.11:
	s_or_saveexec_b64 s[6:7], s[0:1]
                                        ; implicit-def: $vgpr18_vgpr19
                                        ; implicit-def: $vgpr24_vgpr25
                                        ; implicit-def: $vgpr36_vgpr37
                                        ; implicit-def: $vgpr30_vgpr31
	s_xor_b64 exec, exec, s[6:7]
	s_cbranch_execz .LBB14_21
; %bb.12:
	s_load_dwordx2 s[0:1], s[4:5], 0x10
	global_load_dwordx2 v[18:19], v[8:9], off
	v_mov_b32_e32 v36, 0x3ff00000
	v_mov_b32_e32 v39, s19
	;; [unrolled: 1-line block ×3, first 2 shown]
	s_waitcnt lgkmcnt(0)
	v_mov_b32_e32 v12, s1
	v_add_co_u32_e32 v14, vcc, s0, v0
	v_addc_co_u32_e32 v15, vcc, v12, v1, vcc
	global_load_dwordx2 v[22:23], v[4:5], off
	global_load_dwordx2 v[12:13], v[14:15], off
	global_load_dwordx2 v[20:21], v[6:7], off
	s_load_dwordx4 s[36:39], s[4:5], 0x0
	s_load_dwordx4 s[28:31], s[4:5], 0x58
	v_div_scale_f64 v[24:25], s[0:1], v[2:3], v[2:3], 1.0
	v_rcp_f64_e32 v[28:29], v[24:25]
	s_waitcnt lgkmcnt(0)
	v_mov_b32_e32 v16, s39
	v_add_co_u32_e64 v30, s[0:1], s38, v0
	v_addc_co_u32_e64 v31, s[0:1], v16, v1, s[0:1]
	v_mov_b32_e32 v17, s37
	v_fma_f64 v[14:15], -v[24:25], v[28:29], 1.0
	v_add_co_u32_e64 v32, s[0:1], s36, v0
	v_addc_co_u32_e64 v33, s[0:1], v17, v1, s[0:1]
	v_fmac_f64_e32 v[28:29], v[28:29], v[14:15]
	global_load_dwordx2 v[14:15], v[30:31], off
	global_load_dwordx2 v[16:17], v[32:33], off
	v_fma_f64 v[30:31], -v[24:25], v[28:29], 1.0
	v_div_scale_f64 v[26:27], vcc, 1.0, v[2:3], 1.0
	v_fmac_f64_e32 v[28:29], v[28:29], v[30:31]
	v_mul_f64 v[30:31], v[26:27], v[28:29]
	v_fma_f64 v[24:25], -v[24:25], v[30:31], v[26:27]
	s_nop 0
	v_div_fmas_f64 v[24:25], v[24:25], v[28:29], v[30:31]
	v_cmp_le_f64_e64 s[0:1], s[12:13], v[2:3]
	v_div_fixup_f64 v[24:25], v[24:25], v[2:3], 1.0
	v_add_f64 v[26:27], v[24:25], -1.0
	s_mov_b32 s22, 0x55555555
	s_mov_b32 s23, 0x3fe55555
	v_mov_b32_e32 v43, s17
	v_mov_b32_e32 v44, s16
	s_mov_b32 s40, 0
	s_brev_b32 s41, 8
	v_mov_b32_e32 v46, 0xffffff80
	s_mov_b32 s34, 0x2a37d1a0
	v_mov_b32_e32 v47, 0x260
	s_mov_b32 s35, 0x3842e792
	v_mov_b32_e32 v48, 0x3c18987c
	v_mov_b32_e32 v49, 0xee7f439d
	s_waitcnt vmcnt(5)
	v_cndmask_b32_e64 v19, v19, 0, s[0:1]
	v_cndmask_b32_e64 v18, v18, 0, s[0:1]
	s_waitcnt vmcnt(4)
	v_add_f64 v[24:25], v[18:19], v[22:23]
	s_waitcnt vmcnt(3)
	v_fma_f64 v[18:19], -0.5, v[12:13], v[2:3]
	v_div_scale_f64 v[22:23], s[2:3], v[18:19], v[18:19], 1.0
	v_rcp_f64_e32 v[32:33], v[22:23]
	v_mul_f64 v[28:29], v[12:13], 0.5
	s_waitcnt vmcnt(2)
	v_fma_f64 v[20:21], -v[28:29], v[24:25], v[20:21]
	v_add_f64 v[34:35], v[20:21], 0
	v_cmp_gt_f64_e64 s[2:3], s[18:19], v[20:21]
	v_fma_f64 v[20:21], -v[22:23], v[32:33], 1.0
	v_fmac_f64_e32 v[32:33], v[32:33], v[20:21]
	v_fma_f64 v[20:21], -v[22:23], v[32:33], 1.0
	v_div_scale_f64 v[30:31], vcc, 1.0, v[18:19], 1.0
	v_fmac_f64_e32 v[32:33], v[32:33], v[20:21]
	v_mul_f64 v[20:21], v[30:31], v[32:33]
	v_fma_f64 v[22:23], -v[22:23], v[20:21], v[30:31]
	s_nop 0
	v_div_fmas_f64 v[20:21], v[22:23], v[32:33], v[20:21]
	v_div_fixup_f64 v[18:19], v[20:21], v[18:19], 1.0
	v_add_f64 v[18:19], v[18:19], -1.0
	v_cmp_nge_f64_e32 vcc, s[14:15], v[2:3]
	v_cndmask_b32_e32 v19, v27, v19, vcc
	v_cndmask_b32_e32 v18, v26, v18, vcc
	v_add_f64 v[18:19], v[18:19], 1.0
	v_cndmask_b32_e64 v19, v19, v36, s[0:1]
	v_cndmask_b32_e64 v18, v18, 0, s[0:1]
	;; [unrolled: 1-line block ×4, first 2 shown]
	v_div_scale_f64 v[22:23], s[2:3], v[18:19], v[18:19], 1.0
	v_rcp_f64_e32 v[36:37], v[22:23]
	v_mul_f64 v[20:21], v[18:19], s[22:23]
	v_div_scale_f64 v[30:31], vcc, 1.0, v[18:19], 1.0
	v_fma_f64 v[40:41], -v[22:23], v[36:37], 1.0
	v_fmac_f64_e32 v[36:37], v[36:37], v[40:41]
	v_fma_f64 v[40:41], -v[22:23], v[36:37], 1.0
	v_fmac_f64_e32 v[36:37], v[36:37], v[40:41]
	v_mul_f64 v[32:33], v[34:35], v[20:21]
	v_mul_f64 v[40:41], v[30:31], v[36:37]
	v_cmp_lt_f64_e64 s[2:3], |v[32:33]|, s[30:31]
	v_fma_f64 v[22:23], -v[22:23], v[40:41], v[30:31]
	s_or_b64 s[2:3], s[0:1], s[2:3]
	v_div_fmas_f64 v[22:23], v[22:23], v[36:37], v[40:41]
	v_cndmask_b32_e64 v33, v33, 0, s[2:3]
	v_cndmask_b32_e64 v32, v32, 0, s[2:3]
	v_div_fixup_f64 v[18:19], v[22:23], v[18:19], 1.0
	v_cmp_gt_f64_e64 s[2:3], s[16:17], v[32:33]
	v_mul_f64 v[18:19], v[18:19], v[18:19]
	v_cndmask_b32_e64 v33, v33, v43, s[2:3]
	v_cndmask_b32_e64 v32, v32, v44, s[2:3]
	v_mul_f64 v[18:19], v[20:21], v[18:19]
	v_mul_f64 v[18:19], v[18:19], v[32:33]
	v_fmac_f64_e32 v[18:19], s[22:23], v[34:35]
	v_div_scale_f64 v[20:21], s[2:3], s[20:21], s[20:21], v[18:19]
	v_rcp_f64_e32 v[22:23], v[20:21]
	v_div_scale_f64 v[30:31], vcc, v[18:19], s[20:21], v[18:19]
	v_cmp_lt_f64_e64 s[4:5], 0, v[12:13]
	v_fma_f64 v[36:37], -v[20:21], v[22:23], 1.0
	v_fmac_f64_e32 v[22:23], v[22:23], v[36:37]
	v_fma_f64 v[36:37], -v[20:21], v[22:23], 1.0
	v_fmac_f64_e32 v[22:23], v[22:23], v[36:37]
	v_mul_f64 v[36:37], v[30:31], v[22:23]
	v_fma_f64 v[20:21], -v[20:21], v[36:37], v[30:31]
	v_div_fmas_f64 v[20:21], v[20:21], v[22:23], v[36:37]
	v_div_fixup_f64 v[18:19], v[20:21], s[20:21], v[18:19]
	v_cmp_gt_f64_e32 vcc, s[40:41], v[18:19]
	v_cndmask_b32_e64 v20, 0, 1, vcc
	v_lshlrev_b32_e32 v20, 8, v20
	v_ldexp_f64 v[20:21], v[18:19], v20
	v_rsq_f64_e32 v[22:23], v[20:21]
	v_cndmask_b32_e32 v41, 0, v46, vcc
	v_cmp_class_f64_e32 vcc, v[20:21], v47
	v_add_f64 v[26:27], v[26:27], 1.0
	v_mul_f64 v[30:31], v[20:21], v[22:23]
	v_mul_f64 v[22:23], v[22:23], 0.5
	v_fma_f64 v[36:37], -v[22:23], v[30:31], 0.5
	v_fmac_f64_e32 v[30:31], v[30:31], v[36:37]
	v_fmac_f64_e32 v[22:23], v[22:23], v[36:37]
	v_fma_f64 v[36:37], -v[30:31], v[30:31], v[20:21]
	v_fmac_f64_e32 v[30:31], v[36:37], v[22:23]
	v_fma_f64 v[36:37], -v[30:31], v[30:31], v[20:21]
	v_fmac_f64_e32 v[30:31], v[36:37], v[22:23]
	v_ldexp_f64 v[22:23], v[30:31], v41
	v_cndmask_b32_e32 v20, v22, v20, vcc
	v_cndmask_b32_e32 v21, v23, v21, vcc
	v_cmp_nge_f64_e32 vcc, s[34:35], v[18:19]
	v_cndmask_b32_e32 v19, v48, v21, vcc
	v_cndmask_b32_e32 v18, v49, v20, vcc
	s_waitcnt vmcnt(0)
	v_fma_f64 v[20:21], v[16:17], v[18:19], v[14:15]
	v_cndmask_b32_e64 v21, v21, 0, s[4:5]
	v_cndmask_b32_e64 v20, v20, 0, s[4:5]
	v_mov_b32_e32 v40, 0x3fe55555
	v_mul_f64 v[26:27], v[26:27], s[22:23]
	v_mov_b32_e32 v18, 0x55555555
	v_add_f64 v[30:31], v[32:33], v[20:21]
	v_cndmask_b32_e64 v19, v27, v40, s[0:1]
	v_cndmask_b32_e64 v18, v26, v18, s[0:1]
	v_mul_f64 v[26:27], v[30:31], -4.0
	v_fmac_f64_e32 v[26:27], 0x40080000, v[24:25]
	v_fmac_f64_e32 v[34:35], v[28:29], v[26:27]
	v_add_f64 v[26:27], v[34:35], 0
	v_cmp_nlt_f64_e64 vcc, |v[26:27]|, s[28:29]
	v_cndmask_b32_e32 v27, 0, v27, vcc
	v_cndmask_b32_e32 v26, 0, v26, vcc
	v_cmp_gt_f64_e32 vcc, s[18:19], v[26:27]
	v_cndmask_b32_e32 v27, v27, v39, vcc
	v_cndmask_b32_e32 v26, v26, v42, vcc
	v_mul_f64 v[28:29], v[18:19], v[26:27]
	v_cmp_lt_f64_e64 s[2:3], |v[28:29]|, s[30:31]
	s_or_b64 s[2:3], s[0:1], s[2:3]
	v_cndmask_b32_e64 v29, v29, 0, s[2:3]
	v_cndmask_b32_e64 v28, v28, 0, s[2:3]
	v_cmp_gt_f64_e32 vcc, s[16:17], v[28:29]
	v_mul_f64 v[22:23], v[10:11], v[18:19]
	v_cndmask_b32_e32 v29, v29, v43, vcc
	v_cndmask_b32_e32 v28, v28, v44, vcc
	v_mul_f64 v[32:33], v[22:23], v[28:29]
	v_fmac_f64_e32 v[32:33], s[22:23], v[26:27]
	v_div_scale_f64 v[34:35], s[2:3], s[20:21], s[20:21], v[32:33]
	v_rcp_f64_e32 v[36:37], v[34:35]
	v_mov_b32_e32 v39, 0
	s_mov_b64 s[14:15], 0
	v_cmp_nge_f64_e64 s[2:3], 0, v[12:13]
	v_fma_f64 v[40:41], -v[34:35], v[36:37], 1.0
	v_fmac_f64_e32 v[36:37], v[36:37], v[40:41]
	v_fma_f64 v[40:41], -v[34:35], v[36:37], 1.0
	v_fmac_f64_e32 v[36:37], v[36:37], v[40:41]
	v_div_scale_f64 v[40:41], vcc, v[32:33], s[20:21], v[32:33]
	v_mul_f64 v[42:43], v[40:41], v[36:37]
	v_fma_f64 v[34:35], -v[34:35], v[42:43], v[40:41]
	s_mov_b64 s[22:23], -1
	s_nop 0
	v_div_fmas_f64 v[34:35], v[34:35], v[36:37], v[42:43]
	v_div_fixup_f64 v[32:33], v[34:35], s[20:21], v[32:33]
	v_cmp_gt_f64_e32 vcc, s[40:41], v[32:33]
	v_cndmask_b32_e64 v34, 0, 1, vcc
	v_lshlrev_b32_e32 v34, 8, v34
	v_ldexp_f64 v[34:35], v[32:33], v34
	v_rsq_f64_e32 v[36:37], v[34:35]
	v_mul_f64 v[40:41], v[34:35], v[36:37]
	v_mul_f64 v[36:37], v[36:37], 0.5
	v_fma_f64 v[42:43], -v[36:37], v[40:41], 0.5
	v_fmac_f64_e32 v[40:41], v[40:41], v[42:43]
	v_fma_f64 v[44:45], -v[40:41], v[40:41], v[34:35]
	v_fmac_f64_e32 v[36:37], v[36:37], v[42:43]
	v_fmac_f64_e32 v[40:41], v[44:45], v[36:37]
	v_fma_f64 v[42:43], -v[40:41], v[40:41], v[34:35]
	v_fmac_f64_e32 v[40:41], v[42:43], v[36:37]
	v_cndmask_b32_e32 v36, 0, v46, vcc
	v_ldexp_f64 v[36:37], v[40:41], v36
	v_cmp_class_f64_e32 vcc, v[34:35], v47
	v_cndmask_b32_e32 v34, v36, v34, vcc
	v_cndmask_b32_e32 v35, v37, v35, vcc
	v_cmp_nge_f64_e32 vcc, s[34:35], v[32:33]
	v_cndmask_b32_e32 v33, v48, v35, vcc
	v_cndmask_b32_e32 v32, v49, v34, vcc
	v_fma_f64 v[34:35], v[16:17], v[32:33], v[14:15]
	v_ldexp_f64 v[32:33], -v[30:31], 3
	v_fmac_f64_e32 v[32:33], 0x401c0000, v[24:25]
	v_cmp_lt_u32_e32 vcc, 3, v38
                                        ; implicit-def: $vgpr30_vgpr31
                                        ; implicit-def: $vgpr36_vgpr37
                                        ; implicit-def: $vgpr24_vgpr25
	s_and_saveexec_b64 s[12:13], vcc
	s_cbranch_execz .LBB14_16
; %bb.13:
	v_and_b32_e32 v39, 0x7ffffffc, v38
	v_mov_b32_e32 v24, v39
.LBB14_14:                              ; =>This Inner Loop Header: Depth=1
	v_add_u32_e32 v24, -4, v24
	v_cmp_eq_u32_e32 vcc, 0, v24
	s_or_b64 s[14:15], vcc, s[14:15]
	s_andn2_b64 exec, exec, s[14:15]
	s_cbranch_execnz .LBB14_14
; %bb.15:
	s_or_b64 exec, exec, s[14:15]
	v_cndmask_b32_e64 v25, v35, 0, s[4:5]
	v_cndmask_b32_e64 v24, v34, 0, s[4:5]
	v_add_f64 v[24:25], v[28:29], v[24:25]
	v_add_f64 v[24:25], v[32:33], v[24:25]
	v_mul_f64 v[24:25], v[12:13], v[24:25]
	s_mov_b32 s15, 0xbfc55555
	s_mov_b32 s14, 0x55555555
	v_fma_f64 v[24:25], s[14:15], v[24:25], v[26:27]
	v_cmp_nlt_f64_e64 vcc, |v[24:25]|, s[28:29]
	v_cndmask_b32_e32 v25, 0, v25, vcc
	v_cndmask_b32_e32 v24, 0, v24, vcc
	v_mov_b32_e32 v30, s19
	v_cmp_gt_f64_e32 vcc, s[18:19], v[24:25]
	v_cndmask_b32_e32 v25, v25, v30, vcc
	v_mov_b32_e32 v30, s18
	v_cndmask_b32_e32 v24, v24, v30, vcc
	v_mul_f64 v[30:31], v[18:19], v[24:25]
	v_cmp_lt_f64_e64 s[22:23], |v[30:31]|, s[30:31]
	s_or_b64 s[22:23], s[0:1], s[22:23]
	v_cndmask_b32_e64 v31, v31, 0, s[22:23]
	v_cndmask_b32_e64 v30, v30, 0, s[22:23]
	v_mov_b32_e32 v36, s17
	v_cmp_gt_f64_e32 vcc, s[16:17], v[30:31]
	v_cndmask_b32_e32 v31, v31, v36, vcc
	v_mov_b32_e32 v36, s16
	v_cndmask_b32_e32 v30, v30, v36, vcc
	v_mul_f64 v[36:37], v[22:23], v[30:31]
	s_mov_b32 s15, 0x3fe55555
	v_fmac_f64_e32 v[36:37], s[14:15], v[24:25]
	v_div_scale_f64 v[40:41], s[14:15], s[20:21], s[20:21], v[36:37]
	v_rcp_f64_e32 v[42:43], v[40:41]
	s_mov_b32 s14, 0
	s_brev_b32 s15, 8
	v_fma_f64 v[44:45], -v[40:41], v[42:43], 1.0
	v_fmac_f64_e32 v[42:43], v[42:43], v[44:45]
	v_fma_f64 v[44:45], -v[40:41], v[42:43], 1.0
	v_fmac_f64_e32 v[42:43], v[42:43], v[44:45]
	v_div_scale_f64 v[44:45], vcc, v[36:37], s[20:21], v[36:37]
	v_mul_f64 v[46:47], v[44:45], v[42:43]
	v_fma_f64 v[40:41], -v[40:41], v[46:47], v[44:45]
	s_nop 1
	v_div_fmas_f64 v[40:41], v[40:41], v[42:43], v[46:47]
	v_div_fixup_f64 v[36:37], v[40:41], s[20:21], v[36:37]
	v_cmp_gt_f64_e32 vcc, s[14:15], v[36:37]
	v_cndmask_b32_e64 v40, 0, 1, vcc
	v_lshlrev_b32_e32 v40, 8, v40
	v_ldexp_f64 v[40:41], v[36:37], v40
	v_rsq_f64_e32 v[42:43], v[40:41]
	s_mov_b32 s14, 0x2a37d1a0
	s_mov_b32 s15, 0x3842e792
	v_mul_f64 v[44:45], v[40:41], v[42:43]
	v_mul_f64 v[42:43], v[42:43], 0.5
	v_fma_f64 v[46:47], -v[42:43], v[44:45], 0.5
	v_fmac_f64_e32 v[44:45], v[44:45], v[46:47]
	v_fma_f64 v[48:49], -v[44:45], v[44:45], v[40:41]
	v_fmac_f64_e32 v[42:43], v[42:43], v[46:47]
	v_fmac_f64_e32 v[44:45], v[48:49], v[42:43]
	v_fma_f64 v[46:47], -v[44:45], v[44:45], v[40:41]
	v_fmac_f64_e32 v[44:45], v[46:47], v[42:43]
	v_mov_b32_e32 v42, 0xffffff80
	v_cndmask_b32_e32 v42, 0, v42, vcc
	v_ldexp_f64 v[42:43], v[44:45], v42
	v_mov_b32_e32 v44, 0x260
	v_cmp_class_f64_e32 vcc, v[40:41], v44
	v_cndmask_b32_e32 v40, v42, v40, vcc
	v_cndmask_b32_e32 v41, v43, v41, vcc
	v_mov_b32_e32 v42, 0x3c18987c
	v_cmp_nge_f64_e32 vcc, s[14:15], v[36:37]
	v_mov_b32_e32 v36, 0xee7f439d
	v_cndmask_b32_e32 v37, v42, v41, vcc
	v_cndmask_b32_e32 v36, v36, v40, vcc
	v_fma_f64 v[36:37], v[16:17], v[36:37], v[14:15]
	v_and_b32_e32 v41, 0x7fffffff, v37
	v_mov_b32_e32 v40, v36
	v_cmp_gt_f64_e32 vcc, s[8:9], v[40:41]
	s_or_b64 s[14:15], s[2:3], vcc
	v_cndmask_b32_e64 v36, v36, 0, s[14:15]
	v_cndmask_b32_e64 v37, v37, 0, s[14:15]
	v_cmp_ne_u32_e32 vcc, v38, v39
	v_cndmask_b32_e64 v37, v37, v21, s[2:3]
	v_cndmask_b32_e64 v36, v36, v20, s[2:3]
	s_orn2_b64 s[22:23], vcc, exec
.LBB14_16:
	s_or_b64 exec, exec, s[12:13]
	s_and_saveexec_b64 s[12:13], s[22:23]
	s_cbranch_execz .LBB14_20
; %bb.17:
	v_sub_u32_e32 v24, v38, v39
	s_mov_b64 s[14:15], 0
.LBB14_18:                              ; =>This Inner Loop Header: Depth=1
	v_add_u32_e32 v24, -1, v24
	v_cmp_eq_u32_e32 vcc, 0, v24
	s_or_b64 s[14:15], vcc, s[14:15]
	s_andn2_b64 exec, exec, s[14:15]
	s_cbranch_execnz .LBB14_18
; %bb.19:
	s_or_b64 exec, exec, s[14:15]
	v_cndmask_b32_e64 v25, v35, 0, s[4:5]
	v_cndmask_b32_e64 v24, v34, 0, s[4:5]
	v_add_f64 v[24:25], v[28:29], v[24:25]
	v_add_f64 v[24:25], v[32:33], v[24:25]
	v_mul_f64 v[12:13], v[12:13], v[24:25]
	s_mov_b32 s5, 0xbfc55555
	s_mov_b32 s4, 0x55555555
	v_fmac_f64_e32 v[26:27], s[4:5], v[12:13]
	v_cmp_nlt_f64_e64 vcc, |v[26:27]|, s[28:29]
	v_cndmask_b32_e32 v13, 0, v27, vcc
	v_cndmask_b32_e32 v12, 0, v26, vcc
	v_mov_b32_e32 v24, s19
	v_cmp_gt_f64_e32 vcc, s[18:19], v[12:13]
	v_cndmask_b32_e32 v25, v13, v24, vcc
	v_mov_b32_e32 v13, s18
	v_cndmask_b32_e32 v24, v12, v13, vcc
	v_mul_f64 v[12:13], v[18:19], v[24:25]
	v_cmp_lt_f64_e64 s[14:15], |v[12:13]|, s[30:31]
	s_or_b64 s[0:1], s[0:1], s[14:15]
	v_cndmask_b32_e64 v13, v13, 0, s[0:1]
	v_cndmask_b32_e64 v12, v12, 0, s[0:1]
	v_mov_b32_e32 v26, s17
	v_cmp_gt_f64_e32 vcc, s[16:17], v[12:13]
	v_cndmask_b32_e32 v31, v13, v26, vcc
	v_mov_b32_e32 v13, s16
	v_cndmask_b32_e32 v30, v12, v13, vcc
	v_mul_f64 v[12:13], v[22:23], v[30:31]
	s_mov_b32 s5, 0x3fe55555
	v_fmac_f64_e32 v[12:13], s[4:5], v[24:25]
	v_div_scale_f64 v[22:23], s[0:1], s[20:21], s[20:21], v[12:13]
	v_rcp_f64_e32 v[26:27], v[22:23]
	s_mov_b32 s0, 0
	s_brev_b32 s1, 8
	v_fma_f64 v[28:29], -v[22:23], v[26:27], 1.0
	v_fmac_f64_e32 v[26:27], v[26:27], v[28:29]
	v_fma_f64 v[28:29], -v[22:23], v[26:27], 1.0
	v_fmac_f64_e32 v[26:27], v[26:27], v[28:29]
	v_div_scale_f64 v[28:29], vcc, v[12:13], s[20:21], v[12:13]
	v_mul_f64 v[32:33], v[28:29], v[26:27]
	v_fma_f64 v[22:23], -v[22:23], v[32:33], v[28:29]
	s_nop 1
	v_div_fmas_f64 v[22:23], v[22:23], v[26:27], v[32:33]
	v_div_fixup_f64 v[12:13], v[22:23], s[20:21], v[12:13]
	v_cmp_gt_f64_e32 vcc, s[0:1], v[12:13]
	v_cndmask_b32_e64 v22, 0, 1, vcc
	v_lshlrev_b32_e32 v22, 8, v22
	v_ldexp_f64 v[22:23], v[12:13], v22
	v_rsq_f64_e32 v[26:27], v[22:23]
	s_mov_b32 s0, 0x2a37d1a0
	s_mov_b32 s1, 0x3842e792
	v_mul_f64 v[28:29], v[22:23], v[26:27]
	v_mul_f64 v[26:27], v[26:27], 0.5
	v_fma_f64 v[32:33], -v[26:27], v[28:29], 0.5
	v_fmac_f64_e32 v[28:29], v[28:29], v[32:33]
	v_fma_f64 v[34:35], -v[28:29], v[28:29], v[22:23]
	v_fmac_f64_e32 v[26:27], v[26:27], v[32:33]
	v_fmac_f64_e32 v[28:29], v[34:35], v[26:27]
	v_fma_f64 v[32:33], -v[28:29], v[28:29], v[22:23]
	v_fmac_f64_e32 v[28:29], v[32:33], v[26:27]
	v_mov_b32_e32 v26, 0xffffff80
	v_cndmask_b32_e32 v26, 0, v26, vcc
	v_ldexp_f64 v[26:27], v[28:29], v26
	v_mov_b32_e32 v28, 0x260
	v_cmp_class_f64_e32 vcc, v[22:23], v28
	v_cndmask_b32_e32 v22, v26, v22, vcc
	v_cndmask_b32_e32 v23, v27, v23, vcc
	v_mov_b32_e32 v26, 0x3c18987c
	v_cmp_nge_f64_e32 vcc, s[0:1], v[12:13]
	v_mov_b32_e32 v12, 0xee7f439d
	v_cndmask_b32_e32 v13, v26, v23, vcc
	v_cndmask_b32_e32 v12, v12, v22, vcc
	v_fmac_f64_e32 v[14:15], v[16:17], v[12:13]
	v_and_b32_e32 v13, 0x7fffffff, v15
	v_mov_b32_e32 v12, v14
	v_cmp_ngt_f64_e32 vcc, s[8:9], v[12:13]
	v_cndmask_b32_e64 v12, v14, v20, s[2:3]
	v_cndmask_b32_e64 v13, v15, v21, s[2:3]
	s_or_b64 vcc, s[2:3], vcc
	v_cndmask_b32_e32 v37, 0, v13, vcc
	v_cndmask_b32_e32 v36, 0, v12, vcc
.LBB14_20:
	s_or_b64 exec, exec, s[12:13]
.LBB14_21:
	s_or_b64 exec, exec, s[6:7]
	v_mul_f64 v[10:11], v[10:11], v[18:19]
	s_mov_b32 s0, 0x55555555
	v_mul_f64 v[10:11], v[10:11], v[30:31]
	s_mov_b32 s1, 0x3fe55555
	v_fmac_f64_e32 v[10:11], s[0:1], v[24:25]
	v_div_scale_f64 v[12:13], s[0:1], s[20:21], s[20:21], v[10:11]
	v_rcp_f64_e32 v[14:15], v[12:13]
	global_store_dwordx2 v[8:9], v[30:31], off
	global_store_dwordx2 v[6:7], v[24:25], off
	s_waitcnt lgkmcnt(0)
	v_mov_b32_e32 v17, s27
	v_add_co_u32_e32 v16, vcc, s26, v0
	v_fma_f64 v[6:7], -v[12:13], v[14:15], 1.0
	v_fmac_f64_e32 v[14:15], v[14:15], v[6:7]
	v_addc_co_u32_e32 v17, vcc, v17, v1, vcc
	v_fma_f64 v[6:7], -v[12:13], v[14:15], 1.0
	v_fmac_f64_e32 v[14:15], v[14:15], v[6:7]
	v_div_scale_f64 v[6:7], vcc, v[10:11], s[20:21], v[10:11]
	v_mul_f64 v[8:9], v[6:7], v[14:15]
	v_fma_f64 v[6:7], -v[12:13], v[8:9], v[6:7]
	s_mov_b32 s0, 0
	s_nop 0
	v_div_fmas_f64 v[6:7], v[6:7], v[14:15], v[8:9]
	v_div_fixup_f64 v[6:7], v[6:7], s[20:21], v[10:11]
	s_brev_b32 s1, 8
	v_cmp_gt_f64_e32 vcc, s[0:1], v[6:7]
	v_cndmask_b32_e64 v8, 0, 1, vcc
	v_lshlrev_b32_e32 v8, 8, v8
	v_ldexp_f64 v[8:9], v[6:7], v8
	v_rsq_f64_e32 v[10:11], v[8:9]
	global_store_dwordx2 v[4:5], v[36:37], off
	s_mov_b32 s0, 0x2a37d1a0
	s_mov_b32 s1, 0x3842e792
	v_mul_f64 v[4:5], v[8:9], v[10:11]
	v_mul_f64 v[10:11], v[10:11], 0.5
	v_fma_f64 v[12:13], -v[10:11], v[4:5], 0.5
	v_fmac_f64_e32 v[4:5], v[4:5], v[12:13]
	v_fma_f64 v[14:15], -v[4:5], v[4:5], v[8:9]
	v_fmac_f64_e32 v[10:11], v[10:11], v[12:13]
	v_fmac_f64_e32 v[4:5], v[14:15], v[10:11]
	v_fma_f64 v[12:13], -v[4:5], v[4:5], v[8:9]
	v_fmac_f64_e32 v[4:5], v[12:13], v[10:11]
	v_mov_b32_e32 v10, 0xffffff80
	v_cndmask_b32_e32 v10, 0, v10, vcc
	v_ldexp_f64 v[4:5], v[4:5], v10
	v_mov_b32_e32 v10, 0x260
	v_cmp_class_f64_e32 vcc, v[8:9], v10
	v_cndmask_b32_e32 v4, v4, v8, vcc
	v_cndmask_b32_e32 v5, v5, v9, vcc
	v_mov_b32_e32 v8, 0x3c18987c
	v_cmp_nge_f64_e32 vcc, s[0:1], v[6:7]
	v_mov_b32_e32 v6, 0xee7f439d
	v_cndmask_b32_e32 v5, v8, v5, vcc
	v_cndmask_b32_e32 v4, v6, v4, vcc
	v_mov_b32_e32 v6, s25
	v_add_co_u32_e32 v0, vcc, s24, v0
	v_addc_co_u32_e32 v1, vcc, v6, v1, vcc
	global_store_dwordx2 v[0:1], v[4:5], off
	v_add_f64 v[0:1], v[2:3], -1.0
	v_mov_b32_e32 v4, 0x3ff00000
	v_cmp_nlt_f64_e64 vcc, |v[0:1]|, s[10:11]
	v_cndmask_b32_e32 v1, v4, v3, vcc
	v_cndmask_b32_e32 v0, 0, v2, vcc
	global_store_dwordx2 v[16:17], v[0:1], off
.LBB14_22:
	s_endpgm
	.section	.rodata,"a",@progbits
	.p2align	6, 0x0
	.amdhsa_kernel _Z31applyMaterialPropertiesForElemsPKdS0_S0_PKiS2_PdS3_S3_S3_S3_S3_ddddddddddi
		.amdhsa_group_segment_fixed_size 0
		.amdhsa_private_segment_fixed_size 0
		.amdhsa_kernarg_size 432
		.amdhsa_user_sgpr_count 6
		.amdhsa_user_sgpr_private_segment_buffer 1
		.amdhsa_user_sgpr_dispatch_ptr 0
		.amdhsa_user_sgpr_queue_ptr 0
		.amdhsa_user_sgpr_kernarg_segment_ptr 1
		.amdhsa_user_sgpr_dispatch_id 0
		.amdhsa_user_sgpr_flat_scratch_init 0
		.amdhsa_user_sgpr_kernarg_preload_length 0
		.amdhsa_user_sgpr_kernarg_preload_offset 0
		.amdhsa_user_sgpr_private_segment_size 0
		.amdhsa_uses_dynamic_stack 0
		.amdhsa_system_sgpr_private_segment_wavefront_offset 0
		.amdhsa_system_sgpr_workgroup_id_x 1
		.amdhsa_system_sgpr_workgroup_id_y 0
		.amdhsa_system_sgpr_workgroup_id_z 0
		.amdhsa_system_sgpr_workgroup_info 0
		.amdhsa_system_vgpr_workitem_id 0
		.amdhsa_next_free_vgpr 50
		.amdhsa_next_free_sgpr 42
		.amdhsa_accum_offset 52
		.amdhsa_reserve_vcc 1
		.amdhsa_reserve_flat_scratch 0
		.amdhsa_float_round_mode_32 0
		.amdhsa_float_round_mode_16_64 0
		.amdhsa_float_denorm_mode_32 3
		.amdhsa_float_denorm_mode_16_64 3
		.amdhsa_dx10_clamp 1
		.amdhsa_ieee_mode 1
		.amdhsa_fp16_overflow 0
		.amdhsa_tg_split 0
		.amdhsa_exception_fp_ieee_invalid_op 0
		.amdhsa_exception_fp_denorm_src 0
		.amdhsa_exception_fp_ieee_div_zero 0
		.amdhsa_exception_fp_ieee_overflow 0
		.amdhsa_exception_fp_ieee_underflow 0
		.amdhsa_exception_fp_ieee_inexact 0
		.amdhsa_exception_int_div_zero 0
	.end_amdhsa_kernel
	.text
.Lfunc_end14:
	.size	_Z31applyMaterialPropertiesForElemsPKdS0_S0_PKiS2_PdS3_S3_S3_S3_S3_ddddddddddi, .Lfunc_end14-_Z31applyMaterialPropertiesForElemsPKdS0_S0_PKiS2_PdS3_S3_S3_S3_S3_ddddddddddi
                                        ; -- End function
	.section	.AMDGPU.csdata,"",@progbits
; Kernel info:
; codeLenInByte = 3264
; NumSgprs: 46
; NumVgprs: 50
; NumAgprs: 0
; TotalNumVgprs: 50
; ScratchSize: 0
; MemoryBound: 0
; FloatMode: 240
; IeeeMode: 1
; LDSByteSize: 0 bytes/workgroup (compile time only)
; SGPRBlocks: 5
; VGPRBlocks: 6
; NumSGPRsForWavesPerEU: 46
; NumVGPRsForWavesPerEU: 50
; AccumOffset: 52
; Occupancy: 8
; WaveLimiterHint : 0
; COMPUTE_PGM_RSRC2:SCRATCH_EN: 0
; COMPUTE_PGM_RSRC2:USER_SGPR: 6
; COMPUTE_PGM_RSRC2:TRAP_HANDLER: 0
; COMPUTE_PGM_RSRC2:TGID_X_EN: 1
; COMPUTE_PGM_RSRC2:TGID_Y_EN: 0
; COMPUTE_PGM_RSRC2:TGID_Z_EN: 0
; COMPUTE_PGM_RSRC2:TIDIG_COMP_CNT: 0
; COMPUTE_PGM_RSRC3_GFX90A:ACCUM_OFFSET: 12
; COMPUTE_PGM_RSRC3_GFX90A:TG_SPLIT: 0
	.text
	.p2alignl 6, 3212836864
	.fill 256, 4, 3212836864
	.type	__hip_cuid_b69aca288b8de4c5,@object ; @__hip_cuid_b69aca288b8de4c5
	.section	.bss,"aw",@nobits
	.globl	__hip_cuid_b69aca288b8de4c5
__hip_cuid_b69aca288b8de4c5:
	.byte	0                               ; 0x0
	.size	__hip_cuid_b69aca288b8de4c5, 1

	.ident	"AMD clang version 19.0.0git (https://github.com/RadeonOpenCompute/llvm-project roc-6.4.0 25133 c7fe45cf4b819c5991fe208aaa96edf142730f1d)"
	.section	".note.GNU-stack","",@progbits
	.addrsig
	.addrsig_sym __hip_cuid_b69aca288b8de4c5
	.amdgpu_metadata
---
amdhsa.kernels:
  - .agpr_count:     0
    .args:
      - .actual_access:  write_only
        .address_space:  global
        .offset:         0
        .size:           8
        .value_kind:     global_buffer
      - .actual_access:  write_only
        .address_space:  global
        .offset:         8
        .size:           8
        .value_kind:     global_buffer
      - .actual_access:  write_only
        .address_space:  global
        .offset:         16
        .size:           8
        .value_kind:     global_buffer
      - .actual_access:  read_only
        .address_space:  global
        .offset:         24
        .size:           8
        .value_kind:     global_buffer
      - .actual_access:  read_only
        .address_space:  global
        .offset:         32
        .size:           8
        .value_kind:     global_buffer
      - .offset:         40
        .size:           4
        .value_kind:     by_value
      - .offset:         48
        .size:           4
        .value_kind:     hidden_block_count_x
      - .offset:         52
        .size:           4
        .value_kind:     hidden_block_count_y
      - .offset:         56
        .size:           4
        .value_kind:     hidden_block_count_z
      - .offset:         60
        .size:           2
        .value_kind:     hidden_group_size_x
      - .offset:         62
        .size:           2
        .value_kind:     hidden_group_size_y
      - .offset:         64
        .size:           2
        .value_kind:     hidden_group_size_z
      - .offset:         66
        .size:           2
        .value_kind:     hidden_remainder_x
      - .offset:         68
        .size:           2
        .value_kind:     hidden_remainder_y
      - .offset:         70
        .size:           2
        .value_kind:     hidden_remainder_z
      - .offset:         88
        .size:           8
        .value_kind:     hidden_global_offset_x
      - .offset:         96
        .size:           8
        .value_kind:     hidden_global_offset_y
      - .offset:         104
        .size:           8
        .value_kind:     hidden_global_offset_z
      - .offset:         112
        .size:           2
        .value_kind:     hidden_grid_dims
    .group_segment_fixed_size: 0
    .kernarg_segment_align: 8
    .kernarg_segment_size: 304
    .language:       OpenCL C
    .language_version:
      - 2
      - 0
    .max_flat_workgroup_size: 1024
    .name:           _Z8fill_sigPdS_S_PKdS1_i
    .private_segment_fixed_size: 0
    .sgpr_count:     20
    .sgpr_spill_count: 0
    .symbol:         _Z8fill_sigPdS_S_PKdS1_i.kd
    .uniform_work_group_size: 1
    .uses_dynamic_stack: false
    .vgpr_count:     11
    .vgpr_spill_count: 0
    .wavefront_size: 64
  - .agpr_count:     0
    .args:
      - .actual_access:  write_only
        .address_space:  global
        .offset:         0
        .size:           8
        .value_kind:     global_buffer
      - .actual_access:  write_only
        .address_space:  global
        .offset:         8
        .size:           8
        .value_kind:     global_buffer
      - .actual_access:  write_only
        .address_space:  global
        .offset:         16
        .size:           8
        .value_kind:     global_buffer
      - .actual_access:  read_only
        .address_space:  global
        .offset:         24
        .size:           8
        .value_kind:     global_buffer
      - .actual_access:  read_only
        .address_space:  global
        .offset:         32
        .size:           8
        .value_kind:     global_buffer
      - .actual_access:  read_only
        .address_space:  global
        .offset:         40
        .size:           8
        .value_kind:     global_buffer
      - .actual_access:  read_only
        .address_space:  global
        .offset:         48
        .size:           8
        .value_kind:     global_buffer
      - .actual_access:  read_only
        .address_space:  global
        .offset:         56
        .size:           8
        .value_kind:     global_buffer
      - .actual_access:  read_only
        .address_space:  global
        .offset:         64
        .size:           8
        .value_kind:     global_buffer
      - .actual_access:  read_only
        .address_space:  global
        .offset:         72
        .size:           8
        .value_kind:     global_buffer
      - .actual_access:  write_only
        .address_space:  global
        .offset:         80
        .size:           8
        .value_kind:     global_buffer
      - .offset:         88
        .size:           4
        .value_kind:     by_value
      - .offset:         96
        .size:           4
        .value_kind:     hidden_block_count_x
      - .offset:         100
        .size:           4
        .value_kind:     hidden_block_count_y
      - .offset:         104
        .size:           4
        .value_kind:     hidden_block_count_z
      - .offset:         108
        .size:           2
        .value_kind:     hidden_group_size_x
      - .offset:         110
        .size:           2
        .value_kind:     hidden_group_size_y
      - .offset:         112
        .size:           2
        .value_kind:     hidden_group_size_z
      - .offset:         114
        .size:           2
        .value_kind:     hidden_remainder_x
      - .offset:         116
        .size:           2
        .value_kind:     hidden_remainder_y
      - .offset:         118
        .size:           2
        .value_kind:     hidden_remainder_z
      - .offset:         136
        .size:           8
        .value_kind:     hidden_global_offset_x
      - .offset:         144
        .size:           8
        .value_kind:     hidden_global_offset_y
      - .offset:         152
        .size:           8
        .value_kind:     hidden_global_offset_z
      - .offset:         160
        .size:           2
        .value_kind:     hidden_grid_dims
    .group_segment_fixed_size: 0
    .kernarg_segment_align: 8
    .kernarg_segment_size: 352
    .language:       OpenCL C
    .language_version:
      - 2
      - 0
    .max_flat_workgroup_size: 1024
    .name:           _Z15integrateStressPdS_S_PKdS1_S1_PKiS1_S1_S1_S_i
    .private_segment_fixed_size: 0
    .sgpr_count:     28
    .sgpr_spill_count: 0
    .symbol:         _Z15integrateStressPdS_S_PKdS1_S1_PKiS1_S1_S1_S_i.kd
    .uniform_work_group_size: 1
    .uses_dynamic_stack: false
    .vgpr_count:     90
    .vgpr_spill_count: 0
    .wavefront_size: 64
  - .agpr_count:     0
    .args:
      - .actual_access:  read_only
        .address_space:  global
        .offset:         0
        .size:           8
        .value_kind:     global_buffer
      - .actual_access:  read_only
        .address_space:  global
        .offset:         8
        .size:           8
        .value_kind:     global_buffer
      - .actual_access:  read_only
        .address_space:  global
        .offset:         16
        .size:           8
        .value_kind:     global_buffer
      - .actual_access:  write_only
        .address_space:  global
        .offset:         24
        .size:           8
        .value_kind:     global_buffer
      - .actual_access:  write_only
        .address_space:  global
        .offset:         32
        .size:           8
        .value_kind:     global_buffer
      - .actual_access:  write_only
        .address_space:  global
        .offset:         40
        .size:           8
        .value_kind:     global_buffer
      - .actual_access:  read_only
        .address_space:  global
        .offset:         48
        .size:           8
        .value_kind:     global_buffer
      - .actual_access:  read_only
        .address_space:  global
        .offset:         56
        .size:           8
        .value_kind:     global_buffer
      - .offset:         64
        .size:           4
        .value_kind:     by_value
      - .offset:         72
        .size:           4
        .value_kind:     hidden_block_count_x
      - .offset:         76
        .size:           4
        .value_kind:     hidden_block_count_y
      - .offset:         80
        .size:           4
        .value_kind:     hidden_block_count_z
      - .offset:         84
        .size:           2
        .value_kind:     hidden_group_size_x
      - .offset:         86
        .size:           2
        .value_kind:     hidden_group_size_y
      - .offset:         88
        .size:           2
        .value_kind:     hidden_group_size_z
      - .offset:         90
        .size:           2
        .value_kind:     hidden_remainder_x
      - .offset:         92
        .size:           2
        .value_kind:     hidden_remainder_y
      - .offset:         94
        .size:           2
        .value_kind:     hidden_remainder_z
      - .offset:         112
        .size:           8
        .value_kind:     hidden_global_offset_x
      - .offset:         120
        .size:           8
        .value_kind:     hidden_global_offset_y
      - .offset:         128
        .size:           8
        .value_kind:     hidden_global_offset_z
      - .offset:         136
        .size:           2
        .value_kind:     hidden_grid_dims
    .group_segment_fixed_size: 0
    .kernarg_segment_align: 8
    .kernarg_segment_size: 328
    .language:       OpenCL C
    .language_version:
      - 2
      - 0
    .max_flat_workgroup_size: 1024
    .name:           _Z15acc_final_forcePKdS0_S0_PdS1_S1_PKiS3_i
    .private_segment_fixed_size: 0
    .sgpr_count:     24
    .sgpr_spill_count: 0
    .symbol:         _Z15acc_final_forcePKdS0_S0_PdS1_S1_PKiS3_i.kd
    .uniform_work_group_size: 1
    .uses_dynamic_stack: false
    .vgpr_count:     26
    .vgpr_spill_count: 0
    .wavefront_size: 64
  - .agpr_count:     0
    .args:
      - .actual_access:  write_only
        .address_space:  global
        .offset:         0
        .size:           8
        .value_kind:     global_buffer
      - .actual_access:  write_only
        .address_space:  global
        .offset:         8
        .size:           8
        .value_kind:     global_buffer
      - .actual_access:  write_only
        .address_space:  global
        .offset:         16
        .size:           8
        .value_kind:     global_buffer
      - .actual_access:  write_only
        .address_space:  global
        .offset:         24
        .size:           8
        .value_kind:     global_buffer
      - .actual_access:  write_only
        .address_space:  global
        .offset:         32
        .size:           8
        .value_kind:     global_buffer
      - .actual_access:  write_only
        .address_space:  global
        .offset:         40
        .size:           8
        .value_kind:     global_buffer
      - .actual_access:  write_only
        .address_space:  global
        .offset:         48
        .size:           8
        .value_kind:     global_buffer
      - .actual_access:  read_only
        .address_space:  global
        .offset:         56
        .size:           8
        .value_kind:     global_buffer
      - .actual_access:  read_only
        .address_space:  global
        .offset:         64
        .size:           8
        .value_kind:     global_buffer
      - .actual_access:  read_only
        .address_space:  global
        .offset:         72
        .size:           8
        .value_kind:     global_buffer
      - .actual_access:  read_only
        .address_space:  global
        .offset:         80
        .size:           8
        .value_kind:     global_buffer
      - .actual_access:  read_only
        .address_space:  global
        .offset:         88
        .size:           8
        .value_kind:     global_buffer
      - .actual_access:  read_only
        .address_space:  global
        .offset:         96
        .size:           8
        .value_kind:     global_buffer
      - .actual_access:  write_only
        .address_space:  global
        .offset:         104
        .size:           8
        .value_kind:     global_buffer
      - .offset:         112
        .size:           4
        .value_kind:     by_value
      - .offset:         120
        .size:           4
        .value_kind:     hidden_block_count_x
      - .offset:         124
        .size:           4
        .value_kind:     hidden_block_count_y
      - .offset:         128
        .size:           4
        .value_kind:     hidden_block_count_z
      - .offset:         132
        .size:           2
        .value_kind:     hidden_group_size_x
      - .offset:         134
        .size:           2
        .value_kind:     hidden_group_size_y
      - .offset:         136
        .size:           2
        .value_kind:     hidden_group_size_z
      - .offset:         138
        .size:           2
        .value_kind:     hidden_remainder_x
      - .offset:         140
        .size:           2
        .value_kind:     hidden_remainder_y
      - .offset:         142
        .size:           2
        .value_kind:     hidden_remainder_z
      - .offset:         160
        .size:           8
        .value_kind:     hidden_global_offset_x
      - .offset:         168
        .size:           8
        .value_kind:     hidden_global_offset_y
      - .offset:         176
        .size:           8
        .value_kind:     hidden_global_offset_z
      - .offset:         184
        .size:           2
        .value_kind:     hidden_grid_dims
    .group_segment_fixed_size: 0
    .kernarg_segment_align: 8
    .kernarg_segment_size: 376
    .language:       OpenCL C
    .language_version:
      - 2
      - 0
    .max_flat_workgroup_size: 1024
    .name:           _Z3hgcPdS_S_S_S_S_S_PKdS1_S1_PKiS1_S1_Pii
    .private_segment_fixed_size: 92
    .sgpr_count:     44
    .sgpr_spill_count: 0
    .symbol:         _Z3hgcPdS_S_S_S_S_S_PKdS1_S1_PKiS1_S1_Pii.kd
    .uniform_work_group_size: 1
    .uses_dynamic_stack: false
    .vgpr_count:     128
    .vgpr_spill_count: 22
    .wavefront_size: 64
  - .agpr_count:     0
    .args:
      - .actual_access:  read_only
        .address_space:  global
        .offset:         0
        .size:           8
        .value_kind:     global_buffer
      - .actual_access:  read_only
        .address_space:  global
        .offset:         8
        .size:           8
        .value_kind:     global_buffer
      - .actual_access:  read_only
        .address_space:  global
        .offset:         16
        .size:           8
        .value_kind:     global_buffer
      - .actual_access:  read_only
        .address_space:  global
        .offset:         24
        .size:           8
        .value_kind:     global_buffer
      - .actual_access:  read_only
        .address_space:  global
        .offset:         32
        .size:           8
        .value_kind:     global_buffer
      - .actual_access:  read_only
        .address_space:  global
        .offset:         40
        .size:           8
        .value_kind:     global_buffer
      - .actual_access:  read_only
        .address_space:  global
        .offset:         48
        .size:           8
        .value_kind:     global_buffer
      - .actual_access:  read_only
        .address_space:  global
        .offset:         56
        .size:           8
        .value_kind:     global_buffer
      - .actual_access:  read_only
        .address_space:  global
        .offset:         64
        .size:           8
        .value_kind:     global_buffer
      - .actual_access:  read_only
        .address_space:  global
        .offset:         72
        .size:           8
        .value_kind:     global_buffer
      - .actual_access:  read_only
        .address_space:  global
        .offset:         80
        .size:           8
        .value_kind:     global_buffer
      - .actual_access:  read_only
        .address_space:  global
        .offset:         88
        .size:           8
        .value_kind:     global_buffer
      - .actual_access:  read_only
        .address_space:  global
        .offset:         96
        .size:           8
        .value_kind:     global_buffer
      - .actual_access:  read_only
        .address_space:  global
        .offset:         104
        .size:           8
        .value_kind:     global_buffer
      - .actual_access:  write_only
        .address_space:  global
        .offset:         112
        .size:           8
        .value_kind:     global_buffer
      - .actual_access:  write_only
        .address_space:  global
        .offset:         120
        .size:           8
        .value_kind:     global_buffer
      - .actual_access:  write_only
        .address_space:  global
        .offset:         128
        .size:           8
        .value_kind:     global_buffer
      - .offset:         136
        .size:           8
        .value_kind:     by_value
      - .offset:         144
        .size:           4
        .value_kind:     by_value
      - .offset:         152
        .size:           4
        .value_kind:     hidden_block_count_x
      - .offset:         156
        .size:           4
        .value_kind:     hidden_block_count_y
      - .offset:         160
        .size:           4
        .value_kind:     hidden_block_count_z
      - .offset:         164
        .size:           2
        .value_kind:     hidden_group_size_x
      - .offset:         166
        .size:           2
        .value_kind:     hidden_group_size_y
      - .offset:         168
        .size:           2
        .value_kind:     hidden_group_size_z
      - .offset:         170
        .size:           2
        .value_kind:     hidden_remainder_x
      - .offset:         172
        .size:           2
        .value_kind:     hidden_remainder_y
      - .offset:         174
        .size:           2
        .value_kind:     hidden_remainder_z
      - .offset:         192
        .size:           8
        .value_kind:     hidden_global_offset_x
      - .offset:         200
        .size:           8
        .value_kind:     hidden_global_offset_y
      - .offset:         208
        .size:           8
        .value_kind:     hidden_global_offset_z
      - .offset:         216
        .size:           2
        .value_kind:     hidden_grid_dims
    .group_segment_fixed_size: 0
    .kernarg_segment_align: 8
    .kernarg_segment_size: 408
    .language:       OpenCL C
    .language_version:
      - 2
      - 0
    .max_flat_workgroup_size: 1024
    .name:           _Z2fbPKdS0_S0_S0_S0_S0_S0_S0_S0_S0_S0_S0_PKiS0_PdS3_S3_di
    .private_segment_fixed_size: 156
    .sgpr_count:     104
    .sgpr_spill_count: 0
    .symbol:         _Z2fbPKdS0_S0_S0_S0_S0_S0_S0_S0_S0_S0_S0_PKiS0_PdS3_S3_di.kd
    .uniform_work_group_size: 1
    .uses_dynamic_stack: false
    .vgpr_count:     128
    .vgpr_spill_count: 42
    .wavefront_size: 64
  - .agpr_count:     0
    .args:
      - .actual_access:  read_only
        .address_space:  global
        .offset:         0
        .size:           8
        .value_kind:     global_buffer
      - .actual_access:  read_only
        .address_space:  global
        .offset:         8
        .size:           8
        .value_kind:     global_buffer
      - .actual_access:  read_only
        .address_space:  global
        .offset:         16
        .size:           8
        .value_kind:     global_buffer
      - .actual_access:  write_only
        .address_space:  global
        .offset:         24
        .size:           8
        .value_kind:     global_buffer
      - .actual_access:  write_only
        .address_space:  global
        .offset:         32
        .size:           8
        .value_kind:     global_buffer
      - .actual_access:  write_only
        .address_space:  global
        .offset:         40
        .size:           8
        .value_kind:     global_buffer
      - .actual_access:  read_only
        .address_space:  global
        .offset:         48
        .size:           8
        .value_kind:     global_buffer
      - .actual_access:  read_only
        .address_space:  global
        .offset:         56
        .size:           8
        .value_kind:     global_buffer
      - .offset:         64
        .size:           4
        .value_kind:     by_value
      - .offset:         72
        .size:           4
        .value_kind:     hidden_block_count_x
      - .offset:         76
        .size:           4
        .value_kind:     hidden_block_count_y
      - .offset:         80
        .size:           4
        .value_kind:     hidden_block_count_z
      - .offset:         84
        .size:           2
        .value_kind:     hidden_group_size_x
      - .offset:         86
        .size:           2
        .value_kind:     hidden_group_size_y
      - .offset:         88
        .size:           2
        .value_kind:     hidden_group_size_z
      - .offset:         90
        .size:           2
        .value_kind:     hidden_remainder_x
      - .offset:         92
        .size:           2
        .value_kind:     hidden_remainder_y
      - .offset:         94
        .size:           2
        .value_kind:     hidden_remainder_z
      - .offset:         112
        .size:           8
        .value_kind:     hidden_global_offset_x
      - .offset:         120
        .size:           8
        .value_kind:     hidden_global_offset_y
      - .offset:         128
        .size:           8
        .value_kind:     hidden_global_offset_z
      - .offset:         136
        .size:           2
        .value_kind:     hidden_grid_dims
    .group_segment_fixed_size: 0
    .kernarg_segment_align: 8
    .kernarg_segment_size: 328
    .language:       OpenCL C
    .language_version:
      - 2
      - 0
    .max_flat_workgroup_size: 1024
    .name:           _Z19collect_final_forcePKdS0_S0_PdS1_S1_PKiS3_i
    .private_segment_fixed_size: 0
    .sgpr_count:     24
    .sgpr_spill_count: 0
    .symbol:         _Z19collect_final_forcePKdS0_S0_PdS1_S1_PKiS3_i.kd
    .uniform_work_group_size: 1
    .uses_dynamic_stack: false
    .vgpr_count:     26
    .vgpr_spill_count: 0
    .wavefront_size: 64
  - .agpr_count:     0
    .args:
      - .actual_access:  read_only
        .address_space:  global
        .offset:         0
        .size:           8
        .value_kind:     global_buffer
      - .actual_access:  read_only
        .address_space:  global
        .offset:         8
        .size:           8
        .value_kind:     global_buffer
      - .actual_access:  read_only
        .address_space:  global
        .offset:         16
        .size:           8
        .value_kind:     global_buffer
      - .actual_access:  read_only
        .address_space:  global
        .offset:         24
        .size:           8
        .value_kind:     global_buffer
      - .actual_access:  write_only
        .address_space:  global
        .offset:         32
        .size:           8
        .value_kind:     global_buffer
      - .actual_access:  write_only
        .address_space:  global
        .offset:         40
        .size:           8
        .value_kind:     global_buffer
      - .actual_access:  write_only
        .address_space:  global
        .offset:         48
        .size:           8
        .value_kind:     global_buffer
      - .offset:         56
        .size:           4
        .value_kind:     by_value
      - .offset:         64
        .size:           4
        .value_kind:     hidden_block_count_x
      - .offset:         68
        .size:           4
        .value_kind:     hidden_block_count_y
      - .offset:         72
        .size:           4
        .value_kind:     hidden_block_count_z
      - .offset:         76
        .size:           2
        .value_kind:     hidden_group_size_x
      - .offset:         78
        .size:           2
        .value_kind:     hidden_group_size_y
      - .offset:         80
        .size:           2
        .value_kind:     hidden_group_size_z
      - .offset:         82
        .size:           2
        .value_kind:     hidden_remainder_x
      - .offset:         84
        .size:           2
        .value_kind:     hidden_remainder_y
      - .offset:         86
        .size:           2
        .value_kind:     hidden_remainder_z
      - .offset:         104
        .size:           8
        .value_kind:     hidden_global_offset_x
      - .offset:         112
        .size:           8
        .value_kind:     hidden_global_offset_y
      - .offset:         120
        .size:           8
        .value_kind:     hidden_global_offset_z
      - .offset:         128
        .size:           2
        .value_kind:     hidden_grid_dims
    .group_segment_fixed_size: 0
    .kernarg_segment_align: 8
    .kernarg_segment_size: 320
    .language:       OpenCL C
    .language_version:
      - 2
      - 0
    .max_flat_workgroup_size: 1024
    .name:           _Z19accelerationForNodePKdS0_S0_S0_PdS1_S1_i
    .private_segment_fixed_size: 0
    .sgpr_count:     20
    .sgpr_spill_count: 0
    .symbol:         _Z19accelerationForNodePKdS0_S0_S0_PdS1_S1_i.kd
    .uniform_work_group_size: 1
    .uses_dynamic_stack: false
    .vgpr_count:     22
    .vgpr_spill_count: 0
    .wavefront_size: 64
  - .agpr_count:     0
    .args:
      - .actual_access:  read_only
        .address_space:  global
        .offset:         0
        .size:           8
        .value_kind:     global_buffer
      - .actual_access:  read_only
        .address_space:  global
        .offset:         8
        .size:           8
        .value_kind:     global_buffer
      - .actual_access:  read_only
        .address_space:  global
        .offset:         16
        .size:           8
        .value_kind:     global_buffer
      - .actual_access:  write_only
        .address_space:  global
        .offset:         24
        .size:           8
        .value_kind:     global_buffer
      - .actual_access:  write_only
        .address_space:  global
        .offset:         32
        .size:           8
        .value_kind:     global_buffer
      - .actual_access:  write_only
        .address_space:  global
        .offset:         40
        .size:           8
        .value_kind:     global_buffer
      - .offset:         48
        .size:           4
        .value_kind:     by_value
      - .offset:         52
        .size:           4
        .value_kind:     by_value
      - .offset:         56
        .size:           4
        .value_kind:     by_value
      - .offset:         60
        .size:           4
        .value_kind:     by_value
      - .offset:         64
        .size:           4
        .value_kind:     hidden_block_count_x
      - .offset:         68
        .size:           4
        .value_kind:     hidden_block_count_y
      - .offset:         72
        .size:           4
        .value_kind:     hidden_block_count_z
      - .offset:         76
        .size:           2
        .value_kind:     hidden_group_size_x
      - .offset:         78
        .size:           2
        .value_kind:     hidden_group_size_y
      - .offset:         80
        .size:           2
        .value_kind:     hidden_group_size_z
      - .offset:         82
        .size:           2
        .value_kind:     hidden_remainder_x
      - .offset:         84
        .size:           2
        .value_kind:     hidden_remainder_y
      - .offset:         86
        .size:           2
        .value_kind:     hidden_remainder_z
      - .offset:         104
        .size:           8
        .value_kind:     hidden_global_offset_x
      - .offset:         112
        .size:           8
        .value_kind:     hidden_global_offset_y
      - .offset:         120
        .size:           8
        .value_kind:     hidden_global_offset_z
      - .offset:         128
        .size:           2
        .value_kind:     hidden_grid_dims
    .group_segment_fixed_size: 0
    .kernarg_segment_align: 8
    .kernarg_segment_size: 320
    .language:       OpenCL C
    .language_version:
      - 2
      - 0
    .max_flat_workgroup_size: 1024
    .name:           _Z43applyAccelerationBoundaryConditionsForNodesPKiS0_S0_PdS1_S1_iiii
    .private_segment_fixed_size: 0
    .sgpr_count:     14
    .sgpr_spill_count: 0
    .symbol:         _Z43applyAccelerationBoundaryConditionsForNodesPKiS0_S0_PdS1_S1_iiii.kd
    .uniform_work_group_size: 1
    .uses_dynamic_stack: false
    .vgpr_count:     6
    .vgpr_spill_count: 0
    .wavefront_size: 64
  - .agpr_count:     0
    .args:
      - .address_space:  global
        .offset:         0
        .size:           8
        .value_kind:     global_buffer
      - .address_space:  global
        .offset:         8
        .size:           8
        .value_kind:     global_buffer
      - .address_space:  global
        .offset:         16
        .size:           8
        .value_kind:     global_buffer
      - .actual_access:  read_only
        .address_space:  global
        .offset:         24
        .size:           8
        .value_kind:     global_buffer
      - .actual_access:  read_only
        .address_space:  global
        .offset:         32
        .size:           8
        .value_kind:     global_buffer
      - .actual_access:  read_only
        .address_space:  global
        .offset:         40
        .size:           8
        .value_kind:     global_buffer
      - .offset:         48
        .size:           8
        .value_kind:     by_value
      - .offset:         56
        .size:           8
        .value_kind:     by_value
      - .offset:         64
        .size:           4
        .value_kind:     by_value
      - .offset:         72
        .size:           4
        .value_kind:     hidden_block_count_x
      - .offset:         76
        .size:           4
        .value_kind:     hidden_block_count_y
      - .offset:         80
        .size:           4
        .value_kind:     hidden_block_count_z
      - .offset:         84
        .size:           2
        .value_kind:     hidden_group_size_x
      - .offset:         86
        .size:           2
        .value_kind:     hidden_group_size_y
      - .offset:         88
        .size:           2
        .value_kind:     hidden_group_size_z
      - .offset:         90
        .size:           2
        .value_kind:     hidden_remainder_x
      - .offset:         92
        .size:           2
        .value_kind:     hidden_remainder_y
      - .offset:         94
        .size:           2
        .value_kind:     hidden_remainder_z
      - .offset:         112
        .size:           8
        .value_kind:     hidden_global_offset_x
      - .offset:         120
        .size:           8
        .value_kind:     hidden_global_offset_y
      - .offset:         128
        .size:           8
        .value_kind:     hidden_global_offset_z
      - .offset:         136
        .size:           2
        .value_kind:     hidden_grid_dims
    .group_segment_fixed_size: 0
    .kernarg_segment_align: 8
    .kernarg_segment_size: 328
    .language:       OpenCL C
    .language_version:
      - 2
      - 0
    .max_flat_workgroup_size: 1024
    .name:           _Z20calcVelocityForNodesPdS_S_PKdS1_S1_ddi
    .private_segment_fixed_size: 0
    .sgpr_count:     28
    .sgpr_spill_count: 0
    .symbol:         _Z20calcVelocityForNodesPdS_S_PKdS1_S1_ddi.kd
    .uniform_work_group_size: 1
    .uses_dynamic_stack: false
    .vgpr_count:     19
    .vgpr_spill_count: 0
    .wavefront_size: 64
  - .agpr_count:     0
    .args:
      - .address_space:  global
        .offset:         0
        .size:           8
        .value_kind:     global_buffer
      - .address_space:  global
        .offset:         8
        .size:           8
        .value_kind:     global_buffer
      - .address_space:  global
        .offset:         16
        .size:           8
        .value_kind:     global_buffer
      - .actual_access:  read_only
        .address_space:  global
        .offset:         24
        .size:           8
        .value_kind:     global_buffer
      - .actual_access:  read_only
        .address_space:  global
        .offset:         32
        .size:           8
        .value_kind:     global_buffer
      - .actual_access:  read_only
        .address_space:  global
        .offset:         40
        .size:           8
        .value_kind:     global_buffer
      - .offset:         48
        .size:           8
        .value_kind:     by_value
      - .offset:         56
        .size:           4
        .value_kind:     by_value
      - .offset:         64
        .size:           4
        .value_kind:     hidden_block_count_x
      - .offset:         68
        .size:           4
        .value_kind:     hidden_block_count_y
      - .offset:         72
        .size:           4
        .value_kind:     hidden_block_count_z
      - .offset:         76
        .size:           2
        .value_kind:     hidden_group_size_x
      - .offset:         78
        .size:           2
        .value_kind:     hidden_group_size_y
      - .offset:         80
        .size:           2
        .value_kind:     hidden_group_size_z
      - .offset:         82
        .size:           2
        .value_kind:     hidden_remainder_x
      - .offset:         84
        .size:           2
        .value_kind:     hidden_remainder_y
      - .offset:         86
        .size:           2
        .value_kind:     hidden_remainder_z
      - .offset:         104
        .size:           8
        .value_kind:     hidden_global_offset_x
      - .offset:         112
        .size:           8
        .value_kind:     hidden_global_offset_y
      - .offset:         120
        .size:           8
        .value_kind:     hidden_global_offset_z
      - .offset:         128
        .size:           2
        .value_kind:     hidden_grid_dims
    .group_segment_fixed_size: 0
    .kernarg_segment_align: 8
    .kernarg_segment_size: 320
    .language:       OpenCL C
    .language_version:
      - 2
      - 0
    .max_flat_workgroup_size: 1024
    .name:           _Z20calcPositionForNodesPdS_S_PKdS1_S1_di
    .private_segment_fixed_size: 0
    .sgpr_count:     20
    .sgpr_spill_count: 0
    .symbol:         _Z20calcPositionForNodesPdS_S_PKdS1_S1_di.kd
    .uniform_work_group_size: 1
    .uses_dynamic_stack: false
    .vgpr_count:     18
    .vgpr_spill_count: 0
    .wavefront_size: 64
  - .agpr_count:     0
    .args:
      - .actual_access:  read_only
        .address_space:  global
        .offset:         0
        .size:           8
        .value_kind:     global_buffer
      - .actual_access:  read_only
        .address_space:  global
        .offset:         8
        .size:           8
        .value_kind:     global_buffer
      - .actual_access:  read_only
        .address_space:  global
        .offset:         16
        .size:           8
        .value_kind:     global_buffer
      - .actual_access:  read_only
        .address_space:  global
        .offset:         24
        .size:           8
        .value_kind:     global_buffer
      - .actual_access:  read_only
        .address_space:  global
        .offset:         32
        .size:           8
        .value_kind:     global_buffer
      - .actual_access:  read_only
        .address_space:  global
        .offset:         40
        .size:           8
        .value_kind:     global_buffer
      - .actual_access:  read_only
        .address_space:  global
        .offset:         48
        .size:           8
        .value_kind:     global_buffer
      - .actual_access:  read_only
        .address_space:  global
        .offset:         56
        .size:           8
        .value_kind:     global_buffer
      - .actual_access:  read_only
        .address_space:  global
        .offset:         64
        .size:           8
        .value_kind:     global_buffer
      - .actual_access:  write_only
        .address_space:  global
        .offset:         72
        .size:           8
        .value_kind:     global_buffer
      - .actual_access:  write_only
        .address_space:  global
        .offset:         80
        .size:           8
        .value_kind:     global_buffer
      - .actual_access:  write_only
        .address_space:  global
        .offset:         88
        .size:           8
        .value_kind:     global_buffer
      - .actual_access:  write_only
        .address_space:  global
        .offset:         96
        .size:           8
        .value_kind:     global_buffer
      - .actual_access:  write_only
        .address_space:  global
        .offset:         104
        .size:           8
        .value_kind:     global_buffer
      - .actual_access:  write_only
        .address_space:  global
        .offset:         112
        .size:           8
        .value_kind:     global_buffer
      - .offset:         120
        .size:           8
        .value_kind:     by_value
      - .offset:         128
        .size:           4
        .value_kind:     by_value
      - .offset:         136
        .size:           4
        .value_kind:     hidden_block_count_x
      - .offset:         140
        .size:           4
        .value_kind:     hidden_block_count_y
      - .offset:         144
        .size:           4
        .value_kind:     hidden_block_count_z
      - .offset:         148
        .size:           2
        .value_kind:     hidden_group_size_x
      - .offset:         150
        .size:           2
        .value_kind:     hidden_group_size_y
      - .offset:         152
        .size:           2
        .value_kind:     hidden_group_size_z
      - .offset:         154
        .size:           2
        .value_kind:     hidden_remainder_x
      - .offset:         156
        .size:           2
        .value_kind:     hidden_remainder_y
      - .offset:         158
        .size:           2
        .value_kind:     hidden_remainder_z
      - .offset:         176
        .size:           8
        .value_kind:     hidden_global_offset_x
      - .offset:         184
        .size:           8
        .value_kind:     hidden_global_offset_y
      - .offset:         192
        .size:           8
        .value_kind:     hidden_global_offset_z
      - .offset:         200
        .size:           2
        .value_kind:     hidden_grid_dims
    .group_segment_fixed_size: 0
    .kernarg_segment_align: 8
    .kernarg_segment_size: 392
    .language:       OpenCL C
    .language_version:
      - 2
      - 0
    .max_flat_workgroup_size: 1024
    .name:           _Z22calcKinematicsForElemsPKdS0_S0_S0_S0_S0_PKiS0_S0_PdS3_S3_S3_S3_S3_di
    .private_segment_fixed_size: 0
    .sgpr_count:     28
    .sgpr_spill_count: 0
    .symbol:         _Z22calcKinematicsForElemsPKdS0_S0_S0_S0_S0_PKiS0_S0_PdS3_S3_S3_S3_S3_di.kd
    .uniform_work_group_size: 1
    .uses_dynamic_stack: false
    .vgpr_count:     128
    .vgpr_spill_count: 0
    .wavefront_size: 64
  - .agpr_count:     0
    .args:
      - .address_space:  global
        .offset:         0
        .size:           8
        .value_kind:     global_buffer
      - .address_space:  global
        .offset:         8
        .size:           8
        .value_kind:     global_buffer
      - .address_space:  global
        .offset:         16
        .size:           8
        .value_kind:     global_buffer
      - .actual_access:  read_only
        .address_space:  global
        .offset:         24
        .size:           8
        .value_kind:     global_buffer
      - .actual_access:  write_only
        .address_space:  global
        .offset:         32
        .size:           8
        .value_kind:     global_buffer
      - .actual_access:  write_only
        .address_space:  global
        .offset:         40
        .size:           8
        .value_kind:     global_buffer
      - .offset:         48
        .size:           4
        .value_kind:     by_value
      - .offset:         56
        .size:           4
        .value_kind:     hidden_block_count_x
      - .offset:         60
        .size:           4
        .value_kind:     hidden_block_count_y
      - .offset:         64
        .size:           4
        .value_kind:     hidden_block_count_z
      - .offset:         68
        .size:           2
        .value_kind:     hidden_group_size_x
      - .offset:         70
        .size:           2
        .value_kind:     hidden_group_size_y
      - .offset:         72
        .size:           2
        .value_kind:     hidden_group_size_z
      - .offset:         74
        .size:           2
        .value_kind:     hidden_remainder_x
      - .offset:         76
        .size:           2
        .value_kind:     hidden_remainder_y
      - .offset:         78
        .size:           2
        .value_kind:     hidden_remainder_z
      - .offset:         96
        .size:           8
        .value_kind:     hidden_global_offset_x
      - .offset:         104
        .size:           8
        .value_kind:     hidden_global_offset_y
      - .offset:         112
        .size:           8
        .value_kind:     hidden_global_offset_z
      - .offset:         120
        .size:           2
        .value_kind:     hidden_grid_dims
    .group_segment_fixed_size: 0
    .kernarg_segment_align: 8
    .kernarg_segment_size: 312
    .language:       OpenCL C
    .language_version:
      - 2
      - 0
    .max_flat_workgroup_size: 1024
    .name:           _Z15calcStrainRatesPdS_S_PKdS_Pii
    .private_segment_fixed_size: 0
    .sgpr_count:     20
    .sgpr_spill_count: 0
    .symbol:         _Z15calcStrainRatesPdS_S_PKdS_Pii.kd
    .uniform_work_group_size: 1
    .uses_dynamic_stack: false
    .vgpr_count:     26
    .vgpr_spill_count: 0
    .wavefront_size: 64
  - .agpr_count:     0
    .args:
      - .actual_access:  read_only
        .address_space:  global
        .offset:         0
        .size:           8
        .value_kind:     global_buffer
      - .actual_access:  read_only
        .address_space:  global
        .offset:         8
        .size:           8
        .value_kind:     global_buffer
      - .actual_access:  read_only
        .address_space:  global
        .offset:         16
        .size:           8
        .value_kind:     global_buffer
      - .actual_access:  read_only
        .address_space:  global
        .offset:         24
        .size:           8
        .value_kind:     global_buffer
      - .actual_access:  read_only
        .address_space:  global
        .offset:         32
        .size:           8
        .value_kind:     global_buffer
      - .actual_access:  read_only
        .address_space:  global
        .offset:         40
        .size:           8
        .value_kind:     global_buffer
      - .actual_access:  read_only
        .address_space:  global
        .offset:         48
        .size:           8
        .value_kind:     global_buffer
      - .actual_access:  read_only
        .address_space:  global
        .offset:         56
        .size:           8
        .value_kind:     global_buffer
      - .actual_access:  write_only
        .address_space:  global
        .offset:         64
        .size:           8
        .value_kind:     global_buffer
      - .actual_access:  write_only
        .address_space:  global
        .offset:         72
        .size:           8
        .value_kind:     global_buffer
      - .actual_access:  write_only
        .address_space:  global
        .offset:         80
        .size:           8
        .value_kind:     global_buffer
      - .actual_access:  write_only
        .address_space:  global
        .offset:         88
        .size:           8
        .value_kind:     global_buffer
      - .actual_access:  write_only
        .address_space:  global
        .offset:         96
        .size:           8
        .value_kind:     global_buffer
      - .actual_access:  write_only
        .address_space:  global
        .offset:         104
        .size:           8
        .value_kind:     global_buffer
      - .actual_access:  read_only
        .address_space:  global
        .offset:         112
        .size:           8
        .value_kind:     global_buffer
      - .offset:         120
        .size:           4
        .value_kind:     by_value
      - .offset:         128
        .size:           4
        .value_kind:     hidden_block_count_x
      - .offset:         132
        .size:           4
        .value_kind:     hidden_block_count_y
      - .offset:         136
        .size:           4
        .value_kind:     hidden_block_count_z
      - .offset:         140
        .size:           2
        .value_kind:     hidden_group_size_x
      - .offset:         142
        .size:           2
        .value_kind:     hidden_group_size_y
      - .offset:         144
        .size:           2
        .value_kind:     hidden_group_size_z
      - .offset:         146
        .size:           2
        .value_kind:     hidden_remainder_x
      - .offset:         148
        .size:           2
        .value_kind:     hidden_remainder_y
      - .offset:         150
        .size:           2
        .value_kind:     hidden_remainder_z
      - .offset:         168
        .size:           8
        .value_kind:     hidden_global_offset_x
      - .offset:         176
        .size:           8
        .value_kind:     hidden_global_offset_y
      - .offset:         184
        .size:           8
        .value_kind:     hidden_global_offset_z
      - .offset:         192
        .size:           2
        .value_kind:     hidden_grid_dims
    .group_segment_fixed_size: 0
    .kernarg_segment_align: 8
    .kernarg_segment_size: 384
    .language:       OpenCL C
    .language_version:
      - 2
      - 0
    .max_flat_workgroup_size: 1024
    .name:           _Z31calcMonotonicQGradientsForElemsPKdS0_S0_S0_S0_S0_PKiS0_PdS3_S3_S3_S3_S3_S0_i
    .private_segment_fixed_size: 0
    .sgpr_count:     32
    .sgpr_spill_count: 0
    .symbol:         _Z31calcMonotonicQGradientsForElemsPKdS0_S0_S0_S0_S0_PKiS0_PdS3_S3_S3_S3_S3_S0_i.kd
    .uniform_work_group_size: 1
    .uses_dynamic_stack: false
    .vgpr_count:     128
    .vgpr_spill_count: 0
    .wavefront_size: 64
  - .agpr_count:     0
    .args:
      - .actual_access:  read_only
        .address_space:  global
        .offset:         0
        .size:           8
        .value_kind:     global_buffer
      - .actual_access:  read_only
        .address_space:  global
        .offset:         8
        .size:           8
        .value_kind:     global_buffer
      - .actual_access:  write_only
        .address_space:  global
        .offset:         16
        .size:           8
        .value_kind:     global_buffer
      - .actual_access:  write_only
        .address_space:  global
        .offset:         24
        .size:           8
        .value_kind:     global_buffer
      - .actual_access:  read_only
        .address_space:  global
        .offset:         32
        .size:           8
        .value_kind:     global_buffer
      - .actual_access:  read_only
        .address_space:  global
        .offset:         40
        .size:           8
        .value_kind:     global_buffer
      - .actual_access:  read_only
        .address_space:  global
        .offset:         48
        .size:           8
        .value_kind:     global_buffer
      - .actual_access:  read_only
        .address_space:  global
        .offset:         56
        .size:           8
        .value_kind:     global_buffer
      - .actual_access:  read_only
        .address_space:  global
        .offset:         64
        .size:           8
        .value_kind:     global_buffer
      - .actual_access:  read_only
        .address_space:  global
        .offset:         72
        .size:           8
        .value_kind:     global_buffer
      - .actual_access:  read_only
        .address_space:  global
        .offset:         80
        .size:           8
        .value_kind:     global_buffer
      - .actual_access:  read_only
        .address_space:  global
        .offset:         88
        .size:           8
        .value_kind:     global_buffer
      - .actual_access:  read_only
        .address_space:  global
        .offset:         96
        .size:           8
        .value_kind:     global_buffer
      - .actual_access:  read_only
        .address_space:  global
        .offset:         104
        .size:           8
        .value_kind:     global_buffer
      - .actual_access:  read_only
        .address_space:  global
        .offset:         112
        .size:           8
        .value_kind:     global_buffer
      - .actual_access:  read_only
        .address_space:  global
        .offset:         120
        .size:           8
        .value_kind:     global_buffer
      - .actual_access:  read_only
        .address_space:  global
        .offset:         128
        .size:           8
        .value_kind:     global_buffer
      - .actual_access:  read_only
        .address_space:  global
        .offset:         136
        .size:           8
        .value_kind:     global_buffer
      - .actual_access:  read_only
        .address_space:  global
        .offset:         144
        .size:           8
        .value_kind:     global_buffer
      - .offset:         152
        .size:           8
        .value_kind:     by_value
      - .offset:         160
        .size:           8
        .value_kind:     by_value
      - .offset:         168
        .size:           8
        .value_kind:     by_value
      - .offset:         176
        .size:           8
        .value_kind:     by_value
      - .offset:         184
        .size:           4
        .value_kind:     by_value
      - .offset:         192
        .size:           4
        .value_kind:     hidden_block_count_x
      - .offset:         196
        .size:           4
        .value_kind:     hidden_block_count_y
      - .offset:         200
        .size:           4
        .value_kind:     hidden_block_count_z
      - .offset:         204
        .size:           2
        .value_kind:     hidden_group_size_x
      - .offset:         206
        .size:           2
        .value_kind:     hidden_group_size_y
      - .offset:         208
        .size:           2
        .value_kind:     hidden_group_size_z
      - .offset:         210
        .size:           2
        .value_kind:     hidden_remainder_x
      - .offset:         212
        .size:           2
        .value_kind:     hidden_remainder_y
      - .offset:         214
        .size:           2
        .value_kind:     hidden_remainder_z
      - .offset:         232
        .size:           8
        .value_kind:     hidden_global_offset_x
      - .offset:         240
        .size:           8
        .value_kind:     hidden_global_offset_y
      - .offset:         248
        .size:           8
        .value_kind:     hidden_global_offset_z
      - .offset:         256
        .size:           2
        .value_kind:     hidden_grid_dims
    .group_segment_fixed_size: 0
    .kernarg_segment_align: 8
    .kernarg_segment_size: 448
    .language:       OpenCL C
    .language_version:
      - 2
      - 0
    .max_flat_workgroup_size: 1024
    .name:           _Z22calcMonotonicQForElemsPKiPKdPdS3_S2_S2_S2_S2_S2_S2_S2_S2_S0_S0_S0_S0_S0_S0_S2_ddddi
    .private_segment_fixed_size: 0
    .sgpr_count:     56
    .sgpr_spill_count: 0
    .symbol:         _Z22calcMonotonicQForElemsPKiPKdPdS3_S2_S2_S2_S2_S2_S2_S2_S2_S0_S0_S0_S0_S0_S0_S2_ddddi.kd
    .uniform_work_group_size: 1
    .uses_dynamic_stack: false
    .vgpr_count:     46
    .vgpr_spill_count: 0
    .wavefront_size: 64
  - .agpr_count:     0
    .args:
      - .actual_access:  read_only
        .address_space:  global
        .offset:         0
        .size:           8
        .value_kind:     global_buffer
      - .actual_access:  read_only
        .address_space:  global
        .offset:         8
        .size:           8
        .value_kind:     global_buffer
      - .actual_access:  read_only
        .address_space:  global
        .offset:         16
        .size:           8
        .value_kind:     global_buffer
      - .actual_access:  read_only
        .address_space:  global
        .offset:         24
        .size:           8
        .value_kind:     global_buffer
      - .actual_access:  read_only
        .address_space:  global
        .offset:         32
        .size:           8
        .value_kind:     global_buffer
      - .address_space:  global
        .offset:         40
        .size:           8
        .value_kind:     global_buffer
      - .address_space:  global
        .offset:         48
        .size:           8
        .value_kind:     global_buffer
      - .address_space:  global
        .offset:         56
        .size:           8
        .value_kind:     global_buffer
      - .actual_access:  write_only
        .address_space:  global
        .offset:         64
        .size:           8
        .value_kind:     global_buffer
      - .actual_access:  write_only
        .address_space:  global
        .offset:         72
        .size:           8
        .value_kind:     global_buffer
      - .address_space:  global
        .offset:         80
        .size:           8
        .value_kind:     global_buffer
      - .offset:         88
        .size:           8
        .value_kind:     by_value
      - .offset:         96
        .size:           8
        .value_kind:     by_value
      - .offset:         104
        .size:           8
        .value_kind:     by_value
      - .offset:         112
        .size:           8
        .value_kind:     by_value
      - .offset:         120
        .size:           8
        .value_kind:     by_value
      - .offset:         128
        .size:           8
        .value_kind:     by_value
      - .offset:         136
        .size:           8
        .value_kind:     by_value
      - .offset:         144
        .size:           8
        .value_kind:     by_value
      - .offset:         152
        .size:           8
        .value_kind:     by_value
      - .offset:         160
        .size:           8
        .value_kind:     by_value
      - .offset:         168
        .size:           4
        .value_kind:     by_value
      - .offset:         176
        .size:           4
        .value_kind:     hidden_block_count_x
      - .offset:         180
        .size:           4
        .value_kind:     hidden_block_count_y
      - .offset:         184
        .size:           4
        .value_kind:     hidden_block_count_z
      - .offset:         188
        .size:           2
        .value_kind:     hidden_group_size_x
      - .offset:         190
        .size:           2
        .value_kind:     hidden_group_size_y
      - .offset:         192
        .size:           2
        .value_kind:     hidden_group_size_z
      - .offset:         194
        .size:           2
        .value_kind:     hidden_remainder_x
      - .offset:         196
        .size:           2
        .value_kind:     hidden_remainder_y
      - .offset:         198
        .size:           2
        .value_kind:     hidden_remainder_z
      - .offset:         216
        .size:           8
        .value_kind:     hidden_global_offset_x
      - .offset:         224
        .size:           8
        .value_kind:     hidden_global_offset_y
      - .offset:         232
        .size:           8
        .value_kind:     hidden_global_offset_z
      - .offset:         240
        .size:           2
        .value_kind:     hidden_grid_dims
    .group_segment_fixed_size: 0
    .kernarg_segment_align: 8
    .kernarg_segment_size: 432
    .language:       OpenCL C
    .language_version:
      - 2
      - 0
    .max_flat_workgroup_size: 1024
    .name:           _Z31applyMaterialPropertiesForElemsPKdS0_S0_PKiS2_PdS3_S3_S3_S3_S3_ddddddddddi
    .private_segment_fixed_size: 0
    .sgpr_count:     46
    .sgpr_spill_count: 0
    .symbol:         _Z31applyMaterialPropertiesForElemsPKdS0_S0_PKiS2_PdS3_S3_S3_S3_S3_ddddddddddi.kd
    .uniform_work_group_size: 1
    .uses_dynamic_stack: false
    .vgpr_count:     50
    .vgpr_spill_count: 0
    .wavefront_size: 64
amdhsa.target:   amdgcn-amd-amdhsa--gfx90a
amdhsa.version:
  - 1
  - 2
...

	.end_amdgpu_metadata
